;; amdgpu-corpus repo=ROCm/rocFFT kind=compiled arch=gfx1030 opt=O3
	.text
	.amdgcn_target "amdgcn-amd-amdhsa--gfx1030"
	.amdhsa_code_object_version 6
	.protected	bluestein_single_fwd_len1512_dim1_sp_op_CI_CI ; -- Begin function bluestein_single_fwd_len1512_dim1_sp_op_CI_CI
	.globl	bluestein_single_fwd_len1512_dim1_sp_op_CI_CI
	.p2align	8
	.type	bluestein_single_fwd_len1512_dim1_sp_op_CI_CI,@function
bluestein_single_fwd_len1512_dim1_sp_op_CI_CI: ; @bluestein_single_fwd_len1512_dim1_sp_op_CI_CI
; %bb.0:
	s_load_dwordx4 s[8:11], s[4:5], 0x28
	v_mul_u32_u24_e32 v1, 0x411, v0
	s_mov_b64 s[22:23], s[2:3]
	s_mov_b64 s[20:21], s[0:1]
	v_mov_b32_e32 v15, 0
	s_add_u32 s20, s20, s7
	v_lshrrev_b32_e32 v1, 16, v1
	s_addc_u32 s21, s21, 0
	s_mov_b32 s0, exec_lo
	v_add_nc_u32_e32 v14, s6, v1
	s_waitcnt lgkmcnt(0)
	v_cmpx_gt_u64_e64 s[8:9], v[14:15]
	s_cbranch_execz .LBB0_10
; %bb.1:
	s_clause 0x1
	s_load_dwordx4 s[0:3], s[4:5], 0x18
	s_load_dwordx4 s[12:15], s[4:5], 0x0
	v_mul_lo_u16 v1, v1, 63
                                        ; implicit-def: $vgpr218
	v_sub_nc_u16 v64, v0, v1
	v_and_b32_e32 v199, 0xffff, v64
	v_lshlrev_b32_e32 v255, 3, v199
	v_lshlrev_b32_e32 v148, 4, v199
	v_add_co_u32 v130, null, 0xbd, v199
	s_waitcnt lgkmcnt(0)
	s_load_dwordx4 s[16:19], s[0:1], 0x0
	v_add_co_u32 v2, s0, s12, v255
	v_add_co_ci_u32_e64 v3, null, s13, 0, s0
	s_clause 0x4
	global_load_dwordx2 v[55:56], v255, s[12:13]
	global_load_dwordx2 v[57:58], v255, s[12:13] offset:504
	global_load_dwordx2 v[61:62], v255, s[12:13] offset:1008
	;; [unrolled: 1-line block ×4, first 2 shown]
	v_add_co_u32 v0, vcc_lo, 0x1000, v2
	v_add_co_ci_u32_e32 v1, vcc_lo, 0, v3, vcc_lo
	v_add_co_u32 v4, vcc_lo, 0x1800, v2
	v_add_co_ci_u32_e32 v5, vcc_lo, 0, v3, vcc_lo
	v_add_co_u32 v6, vcc_lo, 0x800, v2
	s_clause 0x4
	global_load_dwordx2 v[108:109], v[0:1], off offset:1952
	global_load_dwordx2 v[106:107], v[4:5], off offset:408
	;; [unrolled: 1-line block ×5, first 2 shown]
	v_mov_b32_e32 v5, v14
	buffer_store_dword v5, off, s[20:23], 0 ; 4-byte Folded Spill
	buffer_store_dword v6, off, s[20:23], 0 offset:4 ; 4-byte Folded Spill
	s_waitcnt lgkmcnt(0)
	v_mad_u64_u32 v[10:11], null, s18, v14, 0
	v_mad_u64_u32 v[12:13], null, s16, v199, 0
	v_add_co_ci_u32_e32 v7, vcc_lo, 0, v3, vcc_lo
	v_add_co_u32 v8, vcc_lo, 0x2000, v2
	v_add_co_ci_u32_e32 v9, vcc_lo, 0, v3, vcc_lo
	v_mov_b32_e32 v4, v13
	v_mad_u64_u32 v[13:14], null, s19, v14, v[11:12]
	v_add_co_u32 v2, vcc_lo, 0x2800, v2
	v_add_co_ci_u32_e32 v3, vcc_lo, 0, v3, vcc_lo
	s_clause 0x3
	global_load_dwordx2 v[96:97], v[8:9], off offset:376
	global_load_dwordx2 v[92:93], v[8:9], off offset:880
	;; [unrolled: 1-line block ×4, first 2 shown]
	s_mul_i32 s0, s17, 0x17a0
	v_mov_b32_e32 v11, v13
	s_mul_hi_u32 s1, s16, 0x17a0
	s_mul_i32 s6, s16, 0x17a0
	s_add_i32 s1, s1, s0
	s_mul_hi_u32 s8, s16, 0xffffea58
	s_mul_i32 s7, s17, 0xffffea58
	s_mul_i32 s9, s16, 0xffffea58
	s_sub_i32 s0, s8, s16
	v_add_nc_u32_e32 v66, 0x1800, v255
	s_add_i32 s0, s0, s7
	v_add_nc_u32_e32 v75, 0x400, v255
	v_add_nc_u32_e32 v170, 0x800, v255
	;; [unrolled: 1-line block ×8, first 2 shown]
	s_clause 0x3
	global_load_dwordx2 v[98:99], v[6:7], off offset:472
	global_load_dwordx2 v[94:95], v[6:7], off offset:976
	;; [unrolled: 1-line block ×4, first 2 shown]
	v_mad_u64_u32 v[4:5], null, s17, v199, v[4:5]
	global_load_dwordx2 v[68:69], v[0:1], off offset:440
	v_mov_b32_e32 v13, v4
	v_lshlrev_b64 v[4:5], 3, v[10:11]
	v_lshlrev_b64 v[6:7], 3, v[12:13]
	v_add_co_u32 v4, vcc_lo, s10, v4
	v_add_co_ci_u32_e32 v5, vcc_lo, s11, v5, vcc_lo
	v_add_co_u32 v4, vcc_lo, v4, v6
	v_add_co_ci_u32_e32 v5, vcc_lo, v5, v7, vcc_lo
	;; [unrolled: 2-line block ×4, first 2 shown]
	s_clause 0x1
	global_load_dwordx2 v[4:5], v[4:5], off
	global_load_dwordx2 v[6:7], v[6:7], off
	v_add_co_u32 v10, vcc_lo, v8, s6
	v_add_co_ci_u32_e32 v11, vcc_lo, s1, v9, vcc_lo
	v_add_co_u32 v12, vcc_lo, v10, s9
	v_add_co_ci_u32_e32 v13, vcc_lo, s0, v11, vcc_lo
	s_clause 0x1
	global_load_dwordx2 v[8:9], v[8:9], off
	global_load_dwordx2 v[10:11], v[10:11], off
	v_add_co_u32 v14, vcc_lo, v12, s6
	v_add_co_ci_u32_e32 v15, vcc_lo, s1, v13, vcc_lo
	global_load_dwordx2 v[12:13], v[12:13], off
	v_add_co_u32 v16, vcc_lo, v14, s9
	v_add_co_ci_u32_e32 v17, vcc_lo, s0, v15, vcc_lo
	;; [unrolled: 3-line block ×17, first 2 shown]
	s_clause 0x1
	global_load_dwordx2 v[80:81], v[2:3], off offset:344
	global_load_dwordx2 v[70:71], v[2:3], off offset:848
	v_add_co_u32 v48, vcc_lo, v46, s9
	v_add_co_ci_u32_e32 v49, vcc_lo, s0, v47, vcc_lo
	global_load_dwordx2 v[88:89], v[0:1], off offset:944
	global_load_dwordx2 v[44:45], v[44:45], off
	global_load_dwordx2 v[46:47], v[46:47], off
	v_add_co_u32 v50, vcc_lo, v48, s6
	v_add_co_ci_u32_e32 v51, vcc_lo, s1, v49, vcc_lo
	global_load_dwordx2 v[82:83], v[0:1], off offset:1448
	global_load_dwordx2 v[0:1], v[48:49], off
	global_load_dwordx2 v[84:85], v[2:3], off offset:1352
	global_load_dwordx2 v[2:3], v[50:51], off
	s_load_dwordx4 s[8:11], s[2:3], 0x0
	v_cmp_gt_u16_e32 vcc_lo, 9, v64
	s_load_dwordx2 s[2:3], s[4:5], 0x38
	s_waitcnt vmcnt(28)
	v_mul_f32_e32 v49, v4, v56
	s_waitcnt vmcnt(27)
	v_mul_f32_e32 v51, v6, v109
	v_mul_f32_e32 v48, v5, v56
	;; [unrolled: 1-line block ×3, first 2 shown]
	v_fma_f32 v49, v5, v55, -v49
	buffer_store_dword v55, off, s[20:23], 0 offset:16 ; 4-byte Folded Spill
	buffer_store_dword v56, off, s[20:23], 0 offset:20 ; 4-byte Folded Spill
	v_fma_f32 v51, v7, v108, -v51
	buffer_store_dword v108, off, s[20:23], 0 offset:192 ; 4-byte Folded Spill
	buffer_store_dword v109, off, s[20:23], 0 offset:196 ; 4-byte Folded Spill
	s_waitcnt vmcnt(26)
	v_mul_f32_e32 v5, v8, v58
	s_waitcnt vmcnt(25)
	v_mul_f32_e32 v7, v10, v107
	v_fmac_f32_e32 v48, v4, v55
	v_mul_f32_e32 v4, v9, v58
	v_fmac_f32_e32 v50, v6, v108
	;; [unrolled: 2-line block ×3, first 2 shown]
	buffer_store_dword v57, off, s[20:23], 0 offset:24 ; 4-byte Folded Spill
	buffer_store_dword v58, off, s[20:23], 0 offset:28 ; 4-byte Folded Spill
	ds_write_b64 v255, v[50:51] offset:6048
	v_fmac_f32_e32 v6, v10, v106
	buffer_store_dword v106, off, s[20:23], 0 offset:184 ; 4-byte Folded Spill
	buffer_store_dword v107, off, s[20:23], 0 offset:188 ; 4-byte Folded Spill
	s_waitcnt vmcnt(24)
	v_mul_f32_e32 v8, v13, v62
	s_waitcnt vmcnt(23)
	v_mul_f32_e32 v10, v15, v105
	;; [unrolled: 2-line block ×3, first 2 shown]
	v_fma_f32 v5, v9, v57, -v5
	v_mul_f32_e32 v9, v12, v62
	v_add_co_u32 v57, s0, v199, 63
	v_fma_f32 v7, v11, v106, -v7
	v_mul_f32_e32 v11, v14, v105
	v_fma_f32 v9, v13, v61, -v9
	v_mul_f32_e32 v13, v17, v60
	buffer_store_dword v61, off, s[20:23], 0 offset:40 ; 4-byte Folded Spill
	buffer_store_dword v62, off, s[20:23], 0 offset:44 ; 4-byte Folded Spill
	v_add_co_ci_u32_e64 v58, null, 0, 0, s0
	v_fma_f32 v11, v15, v104, -v11
	buffer_store_dword v104, off, s[20:23], 0 offset:176 ; 4-byte Folded Spill
	buffer_store_dword v105, off, s[20:23], 0 offset:180 ; 4-byte Folded Spill
	v_fmac_f32_e32 v13, v16, v59
	buffer_store_dword v59, off, s[20:23], 0 offset:32 ; 4-byte Folded Spill
	buffer_store_dword v60, off, s[20:23], 0 offset:36 ; 4-byte Folded Spill
	s_waitcnt vmcnt(14)
	v_mul_f32_e32 v15, v32, v91
	s_waitcnt vmcnt(13)
	v_mul_f32_e32 v16, v35, v87
	v_add_nc_u32_e32 v60, 0x2400, v255
	v_fma_f32 v15, v33, v90, -v15
	v_fmac_f32_e32 v16, v34, v86
	v_fmac_f32_e32 v8, v12, v61
	v_mul_f32_e32 v12, v19, v103
	v_add_co_u32 v61, null, 0x1b9, v199
	v_fmac_f32_e32 v10, v14, v104
	ds_write2_b64 v255, v[48:49], v[4:5] offset1:63
	ds_write2_b64 v66, v[6:7], v[10:11] offset0:51 offset1:114
	v_fma_f32 v14, v17, v59, -v50
	v_mul_f32_e32 v4, v23, v101
	v_mul_f32_e32 v5, v18, v103
	v_fmac_f32_e32 v12, v18, v102
	v_mul_f32_e32 v7, v20, v54
	ds_write2_b64 v255, v[8:9], v[13:14] offset0:126 offset1:189
	v_mul_f32_e32 v8, v22, v101
	buffer_store_dword v102, off, s[20:23], 0 offset:168 ; 4-byte Folded Spill
	buffer_store_dword v103, off, s[20:23], 0 offset:172 ; 4-byte Folded Spill
	v_fmac_f32_e32 v4, v22, v100
	buffer_store_dword v100, off, s[20:23], 0 offset:160 ; 4-byte Folded Spill
	buffer_store_dword v101, off, s[20:23], 0 offset:164 ; 4-byte Folded Spill
	v_mul_f32_e32 v6, v21, v54
	v_fma_f32 v7, v21, v53, -v7
	buffer_store_dword v53, off, s[20:23], 0 offset:8 ; 4-byte Folded Spill
	buffer_store_dword v54, off, s[20:23], 0 offset:12 ; 4-byte Folded Spill
	v_mul_f32_e32 v9, v24, v99
	v_mul_f32_e32 v10, v26, v97
	;; [unrolled: 1-line block ×4, first 2 shown]
	s_waitcnt vmcnt(2)
	v_mul_f32_e32 v18, v1, v83
	v_fma_f32 v9, v25, v98, -v9
	s_waitcnt vmcnt(0)
	v_mul_f32_e32 v21, v2, v85
	v_fma_f32 v11, v29, v94, -v11
	v_and_b32_e32 v59, 1, v130
	v_and_b32_e32 v63, 1, v61
	v_fma_f32 v13, v19, v102, -v5
	v_mul_f32_e32 v19, v0, v83
	v_fma_f32 v5, v23, v100, -v8
	v_mul_f32_e32 v8, v25, v99
	v_fmac_f32_e32 v6, v20, v53
	v_mul_f32_e32 v20, v3, v85
	ds_write2_b64 v66, v[12:13], v[4:5] offset0:177 offset1:240
	v_mul_f32_e32 v12, v31, v93
	v_mul_f32_e32 v4, v27, v97
	buffer_store_dword v98, off, s[20:23], 0 offset:152 ; 4-byte Folded Spill
	buffer_store_dword v99, off, s[20:23], 0 offset:156 ; 4-byte Folded Spill
	v_fma_f32 v5, v27, v96, -v10
	buffer_store_dword v96, off, s[20:23], 0 offset:144 ; 4-byte Folded Spill
	buffer_store_dword v97, off, s[20:23], 0 offset:148 ; 4-byte Folded Spill
	v_mul_f32_e32 v10, v29, v95
	v_mul_f32_e32 v13, v30, v93
	buffer_store_dword v94, off, s[20:23], 0 offset:136 ; 4-byte Folded Spill
	buffer_store_dword v95, off, s[20:23], 0 offset:140 ; 4-byte Folded Spill
	v_fmac_f32_e32 v12, v30, v92
	buffer_store_dword v92, off, s[20:23], 0 offset:128 ; 4-byte Folded Spill
	buffer_store_dword v93, off, s[20:23], 0 offset:132 ; 4-byte Folded Spill
	;; [unrolled: 1-line block ×4, first 2 shown]
	v_fma_f32 v19, v1, v82, -v19
	v_fmac_f32_e32 v20, v2, v84
	v_fmac_f32_e32 v8, v24, v98
	;; [unrolled: 1-line block ×4, first 2 shown]
	v_fma_f32 v13, v31, v92, -v13
	v_fmac_f32_e32 v14, v32, v90
	ds_write2_b64 v75, v[6:7], v[8:9] offset0:124 offset1:187
	ds_write2_b64 v65, v[4:5], v[12:13] offset0:47 offset1:110
	v_mul_f32_e32 v5, v34, v87
	ds_write2_b64 v170, v[10:11], v[14:15] offset0:122 offset1:185
	buffer_store_dword v86, off, s[20:23], 0 offset:104 ; 4-byte Folded Spill
	buffer_store_dword v87, off, s[20:23], 0 offset:108 ; 4-byte Folded Spill
	v_mul_f32_e32 v7, v36, v79
	v_mul_f32_e32 v9, v38, v77
	;; [unrolled: 1-line block ×9, first 2 shown]
	v_fma_f32 v11, v43, v80, -v11
	v_mul_f32_e32 v13, v44, v89
	v_mul_f32_e32 v15, v46, v71
	v_fmac_f32_e32 v12, v44, v88
	v_fmac_f32_e32 v14, v46, v70
	v_fma_f32 v17, v35, v86, -v5
	v_fma_f32 v5, v37, v78, -v7
	buffer_store_dword v78, off, s[20:23], 0 offset:72 ; 4-byte Folded Spill
	buffer_store_dword v79, off, s[20:23], 0 offset:76 ; 4-byte Folded Spill
	v_fma_f32 v7, v39, v76, -v9
	buffer_store_dword v76, off, s[20:23], 0 offset:64 ; 4-byte Folded Spill
	buffer_store_dword v77, off, s[20:23], 0 offset:68 ; 4-byte Folded Spill
	;; [unrolled: 3-line block ×3, first 2 shown]
	v_mul_f32_e32 v10, v43, v81
	buffer_store_dword v80, off, s[20:23], 0 offset:80 ; 4-byte Folded Spill
	buffer_store_dword v81, off, s[20:23], 0 offset:84 ; 4-byte Folded Spill
	;; [unrolled: 1-line block ×10, first 2 shown]
	v_fmac_f32_e32 v4, v36, v78
	v_fmac_f32_e32 v6, v38, v76
	;; [unrolled: 1-line block ×4, first 2 shown]
	v_fma_f32 v13, v45, v88, -v13
	v_fma_f32 v15, v47, v70, -v15
	v_fmac_f32_e32 v18, v0, v82
	v_fma_f32 v21, v3, v84, -v21
	ds_write2_b64 v65, v[16:17], v[6:7] offset0:173 offset1:236
	ds_write2_b64 v52, v[4:5], v[8:9] offset0:120 offset1:183
	;; [unrolled: 1-line block ×4, first 2 shown]
	ds_write_b64 v255, v[20:21] offset:11592
	s_waitcnt lgkmcnt(0)
	s_waitcnt_vscnt null, 0x0
	s_barrier
	buffer_gl0_inv
	ds_read2_b64 v[48:51], v255 offset1:63
	ds_read2_b64 v[0:3], v73 offset0:116 offset1:179
	ds_read2_b64 v[53:56], v255 offset0:126 offset1:189
	;; [unrolled: 1-line block ×11, first 2 shown]
	s_waitcnt lgkmcnt(0)
	s_barrier
	buffer_gl0_inv
	v_sub_f32_e32 v18, v53, v4
	v_sub_f32_e32 v30, v48, v0
	;; [unrolled: 1-line block ×9, first 2 shown]
	v_fma_f32 v28, v48, 2.0, -v30
	v_fma_f32 v29, v49, 2.0, -v31
	;; [unrolled: 1-line block ×5, first 2 shown]
	v_add_co_u32 v56, null, 0x7e, v199
	v_fma_f32 v37, v83, 2.0, -v39
	v_add_nc_u32_e32 v83, 0x2b5, v199
	v_lshlrev_b32_e32 v50, 4, v57
	v_sub_f32_e32 v6, v68, v8
	v_sub_f32_e32 v7, v69, v9
	v_sub_f32_e32 v10, v70, v10
	v_sub_f32_e32 v11, v71, v11
	v_sub_f32_e32 v14, v76, v14
	v_sub_f32_e32 v15, v77, v15
	v_sub_f32_e32 v22, v78, v16
	v_sub_f32_e32 v23, v79, v17
	v_fma_f32 v16, v53, 2.0, -v18
	v_fma_f32 v17, v54, 2.0, -v19
	;; [unrolled: 1-line block ×3, first 2 shown]
	v_add_co_u32 v55, null, 0xfc, v199
	v_add_co_u32 v54, null, 0x13b, v199
	;; [unrolled: 1-line block ×3, first 2 shown]
	ds_write_b128 v148, v[28:31]
	v_lshlrev_b32_e32 v31, 4, v56
	buffer_store_dword v50, off, s[20:23], 0 offset:480 ; 4-byte Folded Spill
	ds_write_b128 v50, v[24:27]
	v_and_b32_e32 v50, 1, v83
	v_sub_f32_e32 v34, v80, v34
	v_sub_f32_e32 v35, v81, v35
	v_lshlrev_b32_e32 v48, 1, v199
	v_sub_f32_e32 v38, v82, v36
	v_and_b32_e32 v49, 1, v199
	v_sub_f32_e32 v42, v84, v42
	v_sub_f32_e32 v43, v85, v43
	;; [unrolled: 1-line block ×4, first 2 shown]
	v_fma_f32 v4, v68, 2.0, -v6
	v_fma_f32 v5, v69, 2.0, -v7
	;; [unrolled: 1-line block ×8, first 2 shown]
	v_lshlrev_b32_e32 v30, 4, v130
	v_lshlrev_b32_e32 v29, 4, v55
	;; [unrolled: 1-line block ×5, first 2 shown]
	ds_write_b128 v31, v[16:19]
	v_and_b32_e32 v51, 1, v57
	v_lshlrev_b32_e32 v17, 3, v50
	v_fma_f32 v32, v80, 2.0, -v34
	v_fma_f32 v33, v81, 2.0, -v35
	v_lshlrev_b32_e32 v24, 3, v48
	v_fma_f32 v36, v82, 2.0, -v38
	v_lshlrev_b32_e32 v16, 3, v49
	v_fma_f32 v40, v84, 2.0, -v42
	v_fma_f32 v41, v85, 2.0, -v43
	;; [unrolled: 1-line block ×4, first 2 shown]
	buffer_store_dword v31, off, s[20:23], 0 offset:476 ; 4-byte Folded Spill
	buffer_store_dword v30, off, s[20:23], 0 offset:472 ; 4-byte Folded Spill
	ds_write_b128 v30, v[0:3]
	buffer_store_dword v29, off, s[20:23], 0 offset:468 ; 4-byte Folded Spill
	ds_write_b128 v29, v[4:7]
	;; [unrolled: 2-line block ×5, first 2 shown]
	ds_write_b128 v24, v[32:35] offset:8064
	ds_write_b128 v148, v[36:39] offset:9072
	;; [unrolled: 1-line block ×4, first 2 shown]
	s_waitcnt lgkmcnt(0)
	s_waitcnt_vscnt null, 0x0
	s_barrier
	buffer_gl0_inv
	s_clause 0x2
	global_load_dwordx2 v[204:205], v17, s[14:15]
	global_load_dword v32, v17, s[14:15] offset:4
	global_load_dwordx2 v[206:207], v16, s[14:15]
	v_lshlrev_b32_e32 v0, 3, v51
	v_lshlrev_b32_e32 v1, 3, v59
	v_and_b32_e32 v62, 1, v54
	v_add_nc_u32_e32 v78, 0x237, v199
	v_and_or_b32 v69, 0x7c, v48, v49
	s_clause 0x1
	global_load_dword v21, v0, s[14:15]
	global_load_dwordx2 v[214:215], v1, s[14:15]
	v_lshlrev_b32_e32 v0, 3, v62
	v_and_b32_e32 v68, 1, v78
	v_lshlrev_b32_e32 v69, 3, v69
	v_lshlrev_b32_e32 v70, 1, v130
	v_lshlrev_b32_e32 v71, 1, v54
	global_load_dwordx2 v[212:213], v0, s[14:15]
	v_lshlrev_b32_e32 v0, 3, v63
	v_lshlrev_b32_e32 v76, 1, v61
	v_add_nc_u32_e32 v86, 0x3f0, v48
	v_and_b32_e32 v77, 3, v199
	v_and_b32_e32 v79, 3, v56
	global_load_dwordx2 v[210:211], v0, s[14:15]
	v_lshlrev_b32_e32 v0, 3, v68
	v_and_b32_e32 v80, 3, v130
	v_and_b32_e32 v82, 3, v53
	;; [unrolled: 1-line block ×4, first 2 shown]
	global_load_dwordx2 v[208:209], v0, s[14:15]
	ds_read2_b64 v[0:3], v73 offset0:116 offset1:179
	ds_read2_b64 v[4:7], v66 offset0:114 offset1:177
	;; [unrolled: 1-line block ×4, first 2 shown]
	v_and_or_b32 v48, 0x78, v48, v77
	v_lshlrev_b32_e32 v48, 3, v48
	s_waitcnt vmcnt(7) lgkmcnt(3)
	v_mul_f32_e32 v18, v3, v205
	v_mul_f32_e32 v19, v2, v205
	s_waitcnt vmcnt(5)
	v_mul_f32_e32 v16, v1, v207
	v_mul_f32_e32 v17, v0, v207
	s_waitcnt lgkmcnt(2)
	v_mul_f32_e32 v20, v5, v207
	s_waitcnt lgkmcnt(1)
	;; [unrolled: 2-line block ×3, first 2 shown]
	v_mul_f32_e32 v29, v12, v207
	v_fma_f32 v16, v0, v206, -v16
	v_fmac_f32_e32 v17, v1, v206
	s_waitcnt vmcnt(3)
	v_mul_f32_e32 v0, v7, v215
	v_fma_f32 v18, v2, v21, -v18
	v_mul_f32_e32 v1, v9, v207
	v_mul_f32_e32 v2, v13, v207
	v_fmac_f32_e32 v19, v3, v21
	v_fma_f32 v23, v6, v214, -v0
	s_waitcnt vmcnt(2)
	v_mul_f32_e32 v0, v11, v213
	v_fma_f32 v26, v8, v206, -v1
	v_fma_f32 v28, v12, v206, -v2
	buffer_store_dword v21, off, s[20:23], 0 offset:400 ; 4-byte Folded Spill
	v_mul_f32_e32 v21, v4, v207
	v_fma_f32 v27, v10, v212, -v0
	s_waitcnt vmcnt(1)
	v_mul_f32_e32 v0, v15, v211
	v_fma_f32 v20, v4, v206, -v20
	v_mul_f32_e32 v22, v6, v215
	v_fmac_f32_e32 v21, v5, v206
	v_mul_f32_e32 v25, v10, v213
	v_fma_f32 v30, v14, v210, -v0
	ds_read2_b64 v[0:3], v60 offset0:108 offset1:171
	v_fmac_f32_e32 v22, v7, v214
	v_fmac_f32_e32 v24, v9, v206
	;; [unrolled: 1-line block ×3, first 2 shown]
	v_mul_f32_e32 v31, v14, v211
	v_fmac_f32_e32 v29, v13, v206
	buffer_store_dword v32, off, s[20:23], 0 offset:408 ; 4-byte Folded Spill
	v_fmac_f32_e32 v31, v15, v210
	s_waitcnt lgkmcnt(0)
	v_mul_f32_e32 v4, v1, v207
	v_mul_f32_e32 v37, v0, v207
	s_waitcnt vmcnt(0)
	v_mul_f32_e32 v39, v2, v209
	v_fma_f32 v36, v0, v206, -v4
	v_mul_f32_e32 v0, v3, v209
	v_fmac_f32_e32 v37, v1, v206
	v_fmac_f32_e32 v39, v3, v208
	v_fma_f32 v38, v2, v208, -v0
	ds_read2_b64 v[0:3], v67 offset0:106 offset1:169
	s_waitcnt lgkmcnt(0)
	v_mul_f32_e32 v4, v1, v207
	v_mul_f32_e32 v45, v0, v207
	v_mul_f32_e32 v47, v2, v32
	v_fma_f32 v44, v0, v206, -v4
	v_mul_f32_e32 v0, v3, v32
	v_fmac_f32_e32 v45, v1, v206
	v_fmac_f32_e32 v47, v3, v204
	v_fma_f32 v46, v2, v204, -v0
	ds_read2_b64 v[0:3], v255 offset1:63
	s_waitcnt lgkmcnt(0)
	v_sub_f32_e32 v4, v0, v16
	v_sub_f32_e32 v5, v1, v17
	v_sub_f32_e32 v6, v2, v18
	v_sub_f32_e32 v7, v3, v19
	v_fma_f32 v8, v0, 2.0, -v4
	v_fma_f32 v9, v1, 2.0, -v5
	v_fma_f32 v10, v2, 2.0, -v6
	v_fma_f32 v11, v3, 2.0, -v7
	ds_read2_b64 v[0:3], v255 offset0:126 offset1:189
	s_waitcnt lgkmcnt(0)
	v_sub_f32_e32 v12, v0, v20
	v_sub_f32_e32 v13, v1, v21
	v_sub_f32_e32 v14, v2, v23
	v_sub_f32_e32 v15, v3, v22
	v_fma_f32 v16, v0, 2.0, -v12
	v_fma_f32 v17, v1, 2.0, -v13
	v_fma_f32 v18, v2, 2.0, -v14
	v_fma_f32 v19, v3, 2.0, -v15
	ds_read2_b64 v[0:3], v75 offset0:124 offset1:187
	;; [unrolled: 10-line block ×5, first 2 shown]
	s_waitcnt lgkmcnt(0)
	s_waitcnt_vscnt null, 0x0
	s_barrier
	buffer_gl0_inv
	buffer_store_dword v69, off, s[20:23], 0 offset:452 ; 4-byte Folded Spill
	ds_write2_b64 v69, v[8:9], v[4:5] offset1:2
	v_lshlrev_b32_e32 v69, 1, v57
	v_and_or_b32 v4, 0xfc, v69, v51
	v_lshlrev_b32_e32 v51, 1, v56
	v_lshlrev_b32_e32 v4, 3, v4
	v_sub_f32_e32 v44, v0, v44
	buffer_store_dword v4, off, s[20:23], 0 offset:448 ; 4-byte Folded Spill
	ds_write2_b64 v4, v[10:11], v[6:7] offset1:2
	v_and_or_b32 v4, 0x1fc, v51, v49
	v_sub_f32_e32 v45, v1, v45
	v_fma_f32 v0, v0, 2.0, -v44
	v_sub_f32_e32 v46, v2, v46
	v_sub_f32_e32 v47, v3, v47
	v_lshlrev_b32_e32 v4, 3, v4
	v_fma_f32 v1, v1, 2.0, -v45
	v_fma_f32 v2, v2, 2.0, -v46
	v_fma_f32 v3, v3, 2.0, -v47
	buffer_store_dword v4, off, s[20:23], 0 offset:444 ; 4-byte Folded Spill
	ds_write2_b64 v4, v[16:17], v[12:13] offset1:2
	v_and_or_b32 v4, 0x1fc, v70, v59
	v_lshlrev_b32_e32 v59, 1, v55
	v_add_nc_u32_e32 v12, 0x276, v199
	v_lshlrev_b32_e32 v4, 3, v4
	v_and_b32_e32 v81, 3, v12
	buffer_store_dword v4, off, s[20:23], 0 offset:440 ; 4-byte Folded Spill
	ds_write2_b64 v4, v[18:19], v[14:15] offset1:2
	v_and_or_b32 v4, 0x3fc, v59, v49
	v_lshlrev_b32_e32 v4, 3, v4
	buffer_store_dword v4, off, s[20:23], 0 offset:436 ; 4-byte Folded Spill
	ds_write2_b64 v4, v[24:25], v[20:21] offset1:2
	v_and_or_b32 v4, 0x2fc, v71, v62
	v_lshlrev_b32_e32 v62, 1, v53
	v_lshlrev_b32_e32 v4, 3, v4
	buffer_store_dword v4, off, s[20:23], 0 offset:432 ; 4-byte Folded Spill
	ds_write2_b64 v4, v[26:27], v[22:23] offset1:2
	v_and_or_b32 v4, 0x3fc, v62, v49
	v_lshlrev_b32_e32 v4, 3, v4
	buffer_store_dword v4, off, s[20:23], 0 offset:428 ; 4-byte Folded Spill
	ds_write2_b64 v4, v[32:33], v[28:29] offset1:2
	v_and_or_b32 v4, 0x3fc, v76, v63
	v_lshlrev_b32_e32 v63, 1, v78
	v_and_b32_e32 v78, 3, v78
	v_lshlrev_b32_e32 v4, 3, v4
	buffer_store_dword v4, off, s[20:23], 0 offset:424 ; 4-byte Folded Spill
	ds_write2_b64 v4, v[34:35], v[30:31] offset1:2
	v_and_or_b32 v4, 0x7fc, v86, v49
	v_lshlrev_b32_e32 v4, 3, v4
	buffer_store_dword v4, off, s[20:23], 0 offset:420 ; 4-byte Folded Spill
	ds_write2_b64 v4, v[40:41], v[36:37] offset1:2
	v_and_or_b32 v4, 0x4fc, v63, v68
	v_lshlrev_b32_e32 v68, 1, v12
	v_lshlrev_b32_e32 v4, 3, v4
	buffer_store_dword v4, off, s[20:23], 0 offset:416 ; 4-byte Folded Spill
	ds_write2_b64 v4, v[42:43], v[38:39] offset1:2
	v_and_or_b32 v4, 0x5fc, v68, v49
	v_lshlrev_b32_e32 v49, 1, v83
	v_and_b32_e32 v83, 3, v83
	v_lshlrev_b32_e32 v4, 3, v4
	ds_write2_b64 v4, v[0:1], v[44:45] offset1:2
	v_and_or_b32 v0, 0x5fc, v49, v50
	v_and_b32_e32 v50, 3, v57
	buffer_store_dword v4, off, s[20:23], 0 offset:412 ; 4-byte Folded Spill
	v_lshlrev_b32_e32 v1, 3, v77
	v_lshlrev_b32_e32 v0, 3, v0
	buffer_store_dword v0, off, s[20:23], 0 offset:404 ; 4-byte Folded Spill
	ds_write2_b64 v0, v[2:3], v[46:47] offset1:2
	v_lshlrev_b32_e32 v0, 3, v50
	s_waitcnt lgkmcnt(0)
	s_waitcnt_vscnt null, 0x0
	s_barrier
	buffer_gl0_inv
	global_load_dword v8, v0, s[14:15] offset:16
	v_lshlrev_b32_e32 v0, 3, v78
	s_clause 0x2
	global_load_dword v11, v0, s[14:15] offset:20
	global_load_dwordx2 v[16:17], v0, s[14:15] offset:16
	global_load_dwordx2 v[249:250], v1, s[14:15] offset:16
	ds_read2_b64 v[0:3], v73 offset0:116 offset1:179
	s_waitcnt vmcnt(3)
	buffer_store_dword v8, off, s[20:23], 0 offset:316 ; 4-byte Folded Spill
	s_waitcnt vmcnt(1) lgkmcnt(0)
	v_mul_f32_e32 v7, v2, v17
	s_waitcnt vmcnt(0)
	v_mul_f32_e32 v4, v1, v250
	v_mul_f32_e32 v5, v0, v250
	v_fmac_f32_e32 v7, v3, v8
	v_fma_f32 v4, v0, v249, -v4
	v_mul_f32_e32 v0, v3, v17
	v_fmac_f32_e32 v5, v1, v249
	v_fma_f32 v6, v2, v8, -v0
	v_lshlrev_b32_e32 v0, 3, v79
	global_load_dword v9, v0, s[14:15] offset:16
	v_lshlrev_b32_e32 v0, 3, v80
	global_load_dword v10, v0, s[14:15] offset:16
	v_lshlrev_b32_e32 v0, 3, v81
	s_clause 0x1
	global_load_dword v24, v0, s[14:15] offset:20
	global_load_dwordx2 v[18:19], v0, s[14:15] offset:16
	ds_read2_b64 v[0:3], v66 offset0:114 offset1:177
	s_waitcnt vmcnt(3)
	buffer_store_dword v9, off, s[20:23], 0 offset:320 ; 4-byte Folded Spill
	s_waitcnt vmcnt(0) lgkmcnt(0)
	v_mul_f32_e32 v8, v1, v19
	v_mul_f32_e32 v13, v0, v19
	v_fma_f32 v12, v0, v9, -v8
	v_lshlrev_b32_e32 v0, 3, v82
	v_fmac_f32_e32 v13, v1, v9
	v_lshlrev_b32_e32 v1, 3, v83
	s_clause 0x2
	global_load_dwordx2 v[30:31], v0, s[14:15] offset:16
	global_load_dword v9, v1, s[14:15] offset:20
	global_load_dwordx2 v[25:26], v1, s[14:15] offset:16
	buffer_store_dword v10, off, s[20:23], 0 offset:324 ; 4-byte Folded Spill
	s_waitcnt vmcnt(0)
	v_mul_f32_e32 v0, v3, v26
	v_mul_f32_e32 v15, v2, v26
	v_fma_f32 v14, v2, v10, -v0
	v_fmac_f32_e32 v15, v3, v10
	ds_read2_b64 v[0:3], v74 offset0:112 offset1:175
	s_waitcnt lgkmcnt(0)
	v_mul_f32_e32 v8, v1, v250
	v_mul_f32_e32 v21, v0, v250
	v_fma_f32 v20, v0, v249, -v8
	v_lshlrev_b32_e32 v0, 3, v84
	v_fmac_f32_e32 v21, v1, v249
	global_load_dwordx2 v[200:201], v0, s[14:15] offset:16
	s_waitcnt vmcnt(0)
	v_mul_f32_e32 v0, v3, v201
	v_mul_f32_e32 v23, v2, v201
	v_fma_f32 v22, v2, v200, -v0
	v_fmac_f32_e32 v23, v3, v200
	ds_read2_b64 v[0:3], v65 offset0:110 offset1:173
	s_waitcnt lgkmcnt(0)
	v_mul_f32_e32 v8, v1, v31
	v_mul_f32_e32 v29, v0, v31
	v_fma_f32 v28, v0, v30, -v8
	v_lshlrev_b32_e32 v0, 3, v85
	buffer_store_dword v30, off, s[20:23], 0 offset:392 ; 4-byte Folded Spill
	buffer_store_dword v31, off, s[20:23], 0 offset:396 ; 4-byte Folded Spill
	;; [unrolled: 1-line block ×3, first 2 shown]
	global_load_dwordx2 v[202:203], v0, s[14:15] offset:16
	v_fmac_f32_e32 v29, v1, v30
	s_waitcnt vmcnt(0)
	v_mul_f32_e32 v0, v3, v203
	v_mul_f32_e32 v31, v2, v203
	v_fma_f32 v30, v2, v202, -v0
	v_fmac_f32_e32 v31, v3, v202
	ds_read2_b64 v[0:3], v60 offset0:108 offset1:171
	s_waitcnt lgkmcnt(0)
	v_mul_f32_e32 v8, v1, v250
	v_mul_f32_e32 v37, v0, v250
	;; [unrolled: 1-line block ×3, first 2 shown]
	v_fma_f32 v36, v0, v249, -v8
	v_mul_f32_e32 v0, v3, v11
	v_fmac_f32_e32 v37, v1, v249
	v_fma_f32 v38, v2, v16, -v0
	buffer_store_dword v16, off, s[20:23], 0 offset:332 ; 4-byte Folded Spill
	buffer_store_dword v17, off, s[20:23], 0 offset:336 ; 4-byte Folded Spill
	;; [unrolled: 1-line block ×3, first 2 shown]
	v_fmac_f32_e32 v39, v3, v16
	ds_read2_b64 v[0:3], v67 offset0:106 offset1:169
	s_waitcnt lgkmcnt(0)
	v_mul_f32_e32 v8, v1, v24
	v_mul_f32_e32 v45, v0, v24
	;; [unrolled: 1-line block ×3, first 2 shown]
	v_fma_f32 v44, v0, v18, -v8
	v_mul_f32_e32 v0, v3, v9
	buffer_store_dword v18, off, s[20:23], 0 offset:344 ; 4-byte Folded Spill
	buffer_store_dword v19, off, s[20:23], 0 offset:348 ; 4-byte Folded Spill
	;; [unrolled: 1-line block ×3, first 2 shown]
	v_fma_f32 v46, v2, v25, -v0
	buffer_store_dword v25, off, s[20:23], 0 offset:364 ; 4-byte Folded Spill
	buffer_store_dword v26, off, s[20:23], 0 offset:368 ; 4-byte Folded Spill
	v_fmac_f32_e32 v45, v1, v18
	v_fmac_f32_e32 v47, v3, v25
	ds_read2_b64 v[0:3], v255 offset1:63
	s_waitcnt lgkmcnt(0)
	v_sub_f32_e32 v4, v0, v4
	v_sub_f32_e32 v5, v1, v5
	v_sub_f32_e32 v6, v2, v6
	v_sub_f32_e32 v7, v3, v7
	v_fma_f32 v8, v0, 2.0, -v4
	v_fma_f32 v9, v1, 2.0, -v5
	v_fma_f32 v10, v2, 2.0, -v6
	v_fma_f32 v11, v3, 2.0, -v7
	ds_read2_b64 v[0:3], v255 offset0:126 offset1:189
	s_waitcnt lgkmcnt(0)
	v_sub_f32_e32 v12, v0, v12
	v_sub_f32_e32 v13, v1, v13
	v_sub_f32_e32 v14, v2, v14
	v_sub_f32_e32 v15, v3, v15
	v_fma_f32 v16, v0, 2.0, -v12
	v_fma_f32 v17, v1, 2.0, -v13
	v_fma_f32 v18, v2, 2.0, -v14
	v_fma_f32 v19, v3, 2.0, -v15
	ds_read2_b64 v[0:3], v75 offset0:124 offset1:187
	;; [unrolled: 10-line block ×5, first 2 shown]
	s_waitcnt lgkmcnt(0)
	s_waitcnt_vscnt null, 0x0
	s_barrier
	buffer_gl0_inv
	ds_write2_b64 v48, v[8:9], v[4:5] offset1:4
	v_and_or_b32 v4, 0xf8, v69, v50
	buffer_store_dword v48, off, s[20:23], 0 offset:388 ; 4-byte Folded Spill
	buffer_store_dword v86, off, s[20:23], 0 offset:484 ; 4-byte Folded Spill
	v_lshlrev_b32_e32 v4, 3, v4
	buffer_store_dword v4, off, s[20:23], 0 offset:384 ; 4-byte Folded Spill
	ds_write2_b64 v4, v[10:11], v[6:7] offset1:4
	v_and_or_b32 v4, 0x1f8, v51, v79
	v_and_b32_e32 v79, 0xff, v56
	v_sub_f32_e32 v44, v0, v44
	v_sub_f32_e32 v45, v1, v45
	v_lshlrev_b32_e32 v4, 3, v4
	v_sub_f32_e32 v46, v2, v46
	v_sub_f32_e32 v47, v3, v47
	v_fma_f32 v0, v0, 2.0, -v44
	v_fma_f32 v1, v1, 2.0, -v45
	buffer_store_dword v4, off, s[20:23], 0 offset:376 ; 4-byte Folded Spill
	ds_write2_b64 v4, v[16:17], v[12:13] offset1:4
	v_and_or_b32 v4, 0x1f8, v70, v80
	v_fma_f32 v2, v2, 2.0, -v46
	v_fma_f32 v3, v3, 2.0, -v47
	v_lshlrev_b32_e32 v4, 3, v4
	buffer_store_dword v4, off, s[20:23], 0 offset:372 ; 4-byte Folded Spill
	ds_write2_b64 v4, v[18:19], v[14:15] offset1:4
	v_and_or_b32 v4, 0x3f8, v59, v77
	v_lshlrev_b32_e32 v4, 3, v4
	buffer_store_dword v4, off, s[20:23], 0 offset:352 ; 4-byte Folded Spill
	ds_write2_b64 v4, v[24:25], v[20:21] offset1:4
	v_and_or_b32 v4, 0x2f8, v71, v84
	v_and_b32_e32 v20, 7, v57
	v_and_b32_e32 v25, 7, v56
	v_lshlrev_b32_e32 v4, 3, v4
	buffer_store_dword v4, off, s[20:23], 0 offset:340 ; 4-byte Folded Spill
	ds_write2_b64 v4, v[26:27], v[22:23] offset1:4
	v_and_or_b32 v4, 0x3f8, v62, v82
	v_and_b32_e32 v26, 7, v130
	v_lshlrev_b32_e32 v4, 3, v4
	buffer_store_dword v4, off, s[20:23], 0 offset:328 ; 4-byte Folded Spill
	ds_write2_b64 v4, v[32:33], v[28:29] offset1:4
	v_and_or_b32 v4, 0x3f8, v76, v85
	v_lshlrev_b32_e32 v4, 3, v4
	buffer_store_dword v4, off, s[20:23], 0 offset:312 ; 4-byte Folded Spill
	ds_write2_b64 v4, v[34:35], v[30:31] offset1:4
	v_and_or_b32 v4, 0x7f8, v86, v77
	v_and_b32_e32 v35, 7, v55
	v_lshlrev_b32_e32 v4, 3, v4
	buffer_store_dword v4, off, s[20:23], 0 offset:308 ; 4-byte Folded Spill
	ds_write2_b64 v4, v[40:41], v[36:37] offset1:4
	v_and_or_b32 v4, 0x4f8, v63, v78
	v_and_b32_e32 v36, 7, v54
	v_lshlrev_b32_e32 v4, 3, v4
	buffer_store_dword v4, off, s[20:23], 0 offset:304 ; 4-byte Folded Spill
	ds_write2_b64 v4, v[42:43], v[38:39] offset1:4
	v_and_or_b32 v4, 0x5f8, v68, v81
	v_lshlrev_b32_e32 v4, 3, v4
	ds_write2_b64 v4, v[0:1], v[44:45] offset1:4
	v_and_or_b32 v0, 0x5f8, v49, v83
	buffer_store_dword v4, off, s[20:23], 0 offset:300 ; 4-byte Folded Spill
	v_and_b32_e32 v4, 7, v199
	v_lshlrev_b32_e32 v1, 4, v20
	v_and_b32_e32 v45, 7, v53
	v_lshlrev_b32_e32 v0, 3, v0
	v_and_b32_e32 v83, 0xff, v130
	buffer_store_dword v0, off, s[20:23], 0 offset:296 ; 4-byte Folded Spill
	ds_write2_b64 v0, v[2:3], v[46:47] offset1:4
	v_lshlrev_b32_e32 v0, 4, v4
	s_waitcnt lgkmcnt(0)
	s_waitcnt_vscnt null, 0x0
	s_barrier
	buffer_gl0_inv
	s_clause 0x1
	global_load_dwordx4 v[124:127], v0, s[14:15] offset:48
	global_load_dwordx4 v[108:111], v1, s[14:15] offset:48
	ds_read2_b64 v[0:3], v52 offset0:120 offset1:183
	v_and_b32_e32 v46, 7, v61
	s_waitcnt vmcnt(1) lgkmcnt(0)
	v_mul_f32_e32 v5, v1, v125
	v_mul_f32_e32 v6, v0, v125
	s_waitcnt vmcnt(0)
	v_mul_f32_e32 v22, v2, v109
	v_fma_f32 v5, v0, v124, -v5
	v_mul_f32_e32 v0, v3, v109
	v_fmac_f32_e32 v6, v1, v124
	v_fmac_f32_e32 v22, v3, v108
	v_fma_f32 v21, v2, v108, -v0
	ds_read2_b64 v[0:3], v74 offset0:112 offset1:175
	s_waitcnt lgkmcnt(0)
	v_mul_f32_e32 v7, v1, v127
	v_mul_f32_e32 v8, v0, v127
	;; [unrolled: 1-line block ×3, first 2 shown]
	v_fma_f32 v7, v0, v126, -v7
	v_mul_f32_e32 v0, v3, v111
	v_fmac_f32_e32 v8, v1, v126
	v_lshlrev_b32_e32 v1, 4, v26
	v_fmac_f32_e32 v24, v3, v110
	v_sub_f32_e32 v77, v5, v7
	v_fma_f32 v23, v2, v110, -v0
	v_lshlrev_b32_e32 v0, 4, v25
	s_clause 0x1
	global_load_dwordx4 v[120:123], v0, s[14:15] offset:48
	global_load_dwordx4 v[100:103], v1, s[14:15] offset:48
	ds_read2_b64 v[0:3], v72 offset0:118 offset1:181
	v_sub_f32_e32 v76, v6, v8
	s_waitcnt vmcnt(1) lgkmcnt(0)
	v_mul_f32_e32 v9, v1, v121
	v_mul_f32_e32 v28, v0, v121
	s_waitcnt vmcnt(0)
	v_mul_f32_e32 v30, v2, v101
	v_fma_f32 v27, v0, v120, -v9
	v_mul_f32_e32 v0, v3, v101
	v_fmac_f32_e32 v28, v1, v120
	v_fmac_f32_e32 v30, v3, v100
	v_fma_f32 v29, v2, v100, -v0
	ds_read2_b64 v[0:3], v65 offset0:110 offset1:173
	s_waitcnt lgkmcnt(0)
	v_mul_f32_e32 v9, v1, v123
	v_mul_f32_e32 v32, v0, v123
	;; [unrolled: 1-line block ×3, first 2 shown]
	v_fma_f32 v31, v0, v122, -v9
	v_mul_f32_e32 v0, v3, v103
	v_fmac_f32_e32 v32, v1, v122
	v_lshlrev_b32_e32 v1, 4, v36
	v_fmac_f32_e32 v34, v3, v102
	v_fma_f32 v33, v2, v102, -v0
	v_lshlrev_b32_e32 v0, 4, v35
	s_clause 0x1
	global_load_dwordx4 v[104:107], v0, s[14:15] offset:48
	global_load_dwordx4 v[84:87], v1, s[14:15] offset:48
	ds_read2_b64 v[0:3], v73 offset0:116 offset1:179
	s_waitcnt vmcnt(1) lgkmcnt(0)
	v_mul_f32_e32 v9, v1, v105
	v_mul_f32_e32 v38, v0, v105
	s_waitcnt vmcnt(0)
	v_mul_f32_e32 v40, v2, v85
	v_fma_f32 v37, v0, v104, -v9
	v_mul_f32_e32 v0, v3, v85
	v_fmac_f32_e32 v38, v1, v104
	v_fmac_f32_e32 v40, v3, v84
	v_fma_f32 v39, v2, v84, -v0
	ds_read2_b64 v[0:3], v60 offset0:108 offset1:171
	s_waitcnt lgkmcnt(0)
	v_mul_f32_e32 v9, v1, v107
	v_mul_f32_e32 v42, v0, v107
	;; [unrolled: 1-line block ×3, first 2 shown]
	v_fma_f32 v41, v0, v106, -v9
	v_mul_f32_e32 v0, v3, v87
	v_fmac_f32_e32 v42, v1, v106
	v_lshlrev_b32_e32 v1, 4, v46
	v_fmac_f32_e32 v44, v3, v86
	v_fma_f32 v43, v2, v86, -v0
	v_lshlrev_b32_e32 v0, 4, v45
	s_clause 0x1
	global_load_dwordx4 v[92:95], v0, s[14:15] offset:48
	global_load_dwordx4 v[68:71], v1, s[14:15] offset:48
	ds_read2_b64 v[0:3], v66 offset0:114 offset1:177
	s_waitcnt vmcnt(1) lgkmcnt(0)
	v_mul_f32_e32 v9, v1, v93
	v_mul_f32_e32 v48, v0, v93
	s_waitcnt vmcnt(0)
	v_mul_f32_e32 v50, v2, v69
	v_fma_f32 v47, v0, v92, -v9
	v_mul_f32_e32 v0, v3, v69
	v_fmac_f32_e32 v48, v1, v92
	v_fmac_f32_e32 v50, v3, v68
	v_fma_f32 v49, v2, v68, -v0
	ds_read2_b64 v[0:3], v67 offset0:106 offset1:169
	s_waitcnt lgkmcnt(0)
	v_mul_f32_e32 v9, v1, v95
	v_mul_f32_e32 v59, v0, v95
	;; [unrolled: 1-line block ×3, first 2 shown]
	v_fma_f32 v51, v0, v94, -v9
	v_mul_f32_e32 v0, v3, v71
	v_fmac_f32_e32 v59, v1, v94
	v_fmac_f32_e32 v63, v3, v70
	v_fma_f32 v62, v2, v70, -v0
	v_lshrrev_b32_e32 v0, 3, v199
	v_mul_u32_u24_e32 v0, 24, v0
	v_or_b32_e32 v4, v0, v4
	ds_read2_b64 v[0:3], v255 offset1:63
	v_lshlrev_b32_e32 v78, 3, v4
	s_waitcnt lgkmcnt(0)
	v_add_f32_e32 v9, v1, v6
	v_add_f32_e32 v6, v6, v8
	;; [unrolled: 1-line block ×4, first 2 shown]
	v_fma_f32 v1, -0.5, v6, v1
	v_add_f32_e32 v16, v8, v7
	v_add_f32_e32 v8, v5, v7
	v_fmamk_f32 v19, v77, 0xbf5db3d7, v1
	v_fmac_f32_e32 v1, 0x3f5db3d7, v77
	v_fma_f32 v0, -0.5, v8, v0
	ds_read2_b64 v[4:7], v255 offset0:126 offset1:189
	ds_read2_b64 v[8:11], v75 offset0:124 offset1:187
	;; [unrolled: 1-line block ×3, first 2 shown]
	s_waitcnt lgkmcnt(0)
	s_barrier
	buffer_gl0_inv
	v_fmamk_f32 v18, v76, 0x3f5db3d7, v0
	v_fmac_f32_e32 v0, 0xbf5db3d7, v76
	buffer_store_dword v78, off, s[20:23], 0 offset:272 ; 4-byte Folded Spill
	ds_write2_b64 v78, v[16:17], v[18:19] offset1:8
	ds_write_b64 v78, v[0:1] offset:128
	v_lshrrev_b32_e32 v0, 3, v57
	v_add_f32_e32 v17, v22, v24
	v_add_f32_e32 v19, v21, v23
	v_sub_f32_e32 v18, v22, v24
	v_mul_u32_u24_e32 v0, 24, v0
	v_or_b32_e32 v16, v0, v20
	v_add_f32_e32 v0, v3, v22
	v_sub_f32_e32 v20, v21, v23
	v_fmac_f32_e32 v3, -0.5, v17
	v_add_f32_e32 v1, v0, v24
	v_add_f32_e32 v0, v2, v21
	v_fma_f32 v2, -0.5, v19, v2
	v_lshlrev_b32_e32 v19, 3, v16
	v_fmamk_f32 v17, v20, 0xbf5db3d7, v3
	v_fmac_f32_e32 v3, 0x3f5db3d7, v20
	v_add_f32_e32 v0, v0, v23
	v_fmamk_f32 v16, v18, 0x3f5db3d7, v2
	v_fmac_f32_e32 v2, 0xbf5db3d7, v18
	v_sub_f32_e32 v18, v27, v31
	buffer_store_dword v19, off, s[20:23], 0 offset:284 ; 4-byte Folded Spill
	ds_write2_b64 v19, v[0:1], v[16:17] offset1:8
	v_lshrrev_b32_e32 v0, 3, v56
	ds_write_b64 v19, v[2:3] offset:128
	v_add_f32_e32 v3, v28, v32
	v_add_f32_e32 v2, v27, v31
	v_sub_f32_e32 v17, v28, v32
	v_mul_u32_u24_e32 v0, 24, v0
	v_fma_f32 v3, -0.5, v3, v5
	v_fma_f32 v2, -0.5, v2, v4
	v_or_b32_e32 v16, v0, v25
	v_add_f32_e32 v0, v5, v28
	v_fmamk_f32 v5, v18, 0xbf5db3d7, v3
	v_fmac_f32_e32 v3, 0x3f5db3d7, v18
	v_lshlrev_b32_e32 v16, 3, v16
	v_add_f32_e32 v1, v0, v32
	v_add_f32_e32 v0, v4, v27
	v_fmamk_f32 v4, v17, 0x3f5db3d7, v2
	v_fmac_f32_e32 v2, 0xbf5db3d7, v17
	buffer_store_dword v16, off, s[20:23], 0 offset:280 ; 4-byte Folded Spill
	v_add_f32_e32 v0, v0, v31
	ds_write_b64 v16, v[2:3] offset:128
	v_add_f32_e32 v3, v30, v34
	ds_write2_b64 v16, v[0:1], v[4:5] offset1:8
	v_lshrrev_b32_e32 v0, 3, v130
	v_add_f32_e32 v5, v29, v33
	v_sub_f32_e32 v4, v30, v34
	v_sub_f32_e32 v16, v29, v33
	v_mul_u32_u24_e32 v0, 24, v0
	v_or_b32_e32 v2, v0, v26
	v_add_f32_e32 v0, v7, v30
	v_fmac_f32_e32 v7, -0.5, v3
	v_add_f32_e32 v1, v0, v34
	v_add_f32_e32 v0, v6, v29
	v_fma_f32 v6, -0.5, v5, v6
	v_lshlrev_b32_e32 v5, 3, v2
	v_fmamk_f32 v3, v16, 0xbf5db3d7, v7
	v_fmac_f32_e32 v7, 0x3f5db3d7, v16
	v_add_f32_e32 v0, v0, v33
	v_fmamk_f32 v2, v4, 0x3f5db3d7, v6
	v_fmac_f32_e32 v6, 0xbf5db3d7, v4
	buffer_store_dword v5, off, s[20:23], 0 offset:276 ; 4-byte Folded Spill
	ds_write2_b64 v5, v[0:1], v[2:3] offset1:8
	v_lshrrev_b32_e32 v0, 3, v55
	v_add_f32_e32 v3, v38, v42
	v_add_f32_e32 v2, v37, v41
	ds_write_b64 v5, v[6:7] offset:128
	v_sub_f32_e32 v6, v38, v42
	v_mul_u32_u24_e32 v0, 24, v0
	v_sub_f32_e32 v7, v37, v41
	v_fma_f32 v2, -0.5, v2, v8
	v_fma_f32 v3, -0.5, v3, v9
	v_or_b32_e32 v4, v0, v35
	v_add_f32_e32 v0, v9, v38
	v_fmamk_f32 v5, v7, 0xbf5db3d7, v3
	v_fmac_f32_e32 v3, 0x3f5db3d7, v7
	v_sub_f32_e32 v7, v47, v51
	v_add_f32_e32 v1, v0, v42
	v_add_f32_e32 v0, v8, v37
	v_lshlrev_b32_e32 v8, 3, v4
	v_fmamk_f32 v4, v6, 0x3f5db3d7, v2
	v_fmac_f32_e32 v2, 0xbf5db3d7, v6
	v_sub_f32_e32 v6, v39, v43
	v_add_f32_e32 v0, v0, v41
	buffer_store_dword v8, off, s[20:23], 0 offset:260 ; 4-byte Folded Spill
	ds_write_b64 v8, v[2:3] offset:128
	v_add_f32_e32 v3, v40, v44
	ds_write2_b64 v8, v[0:1], v[4:5] offset1:8
	v_lshrrev_b32_e32 v0, 3, v54
	v_add_f32_e32 v5, v39, v43
	v_sub_f32_e32 v4, v40, v44
	v_mul_u32_u24_e32 v0, 24, v0
	v_or_b32_e32 v2, v0, v36
	v_add_f32_e32 v0, v11, v40
	v_fmac_f32_e32 v11, -0.5, v3
	v_add_f32_e32 v1, v0, v44
	v_add_f32_e32 v0, v10, v39
	v_fma_f32 v10, -0.5, v5, v10
	v_lshlrev_b32_e32 v5, 3, v2
	v_fmamk_f32 v3, v6, 0xbf5db3d7, v11
	v_fmac_f32_e32 v11, 0x3f5db3d7, v6
	v_add_f32_e32 v0, v0, v43
	v_fmamk_f32 v2, v4, 0x3f5db3d7, v10
	v_fmac_f32_e32 v10, 0xbf5db3d7, v4
	v_sub_f32_e32 v6, v48, v59
	buffer_store_dword v5, off, s[20:23], 0 offset:240 ; 4-byte Folded Spill
	ds_write2_b64 v5, v[0:1], v[2:3] offset1:8
	v_lshrrev_b32_e32 v0, 3, v53
	v_add_f32_e32 v3, v48, v59
	v_add_f32_e32 v2, v47, v51
	ds_write_b64 v5, v[10:11] offset:128
	v_mul_u32_u24_e32 v0, 24, v0
	v_fma_f32 v3, -0.5, v3, v13
	v_fma_f32 v2, -0.5, v2, v12
	v_or_b32_e32 v4, v0, v45
	v_add_f32_e32 v0, v13, v48
	v_fmamk_f32 v5, v7, 0xbf5db3d7, v3
	v_fmac_f32_e32 v3, 0x3f5db3d7, v7
	v_lshlrev_b32_e32 v8, 3, v4
	v_add_f32_e32 v1, v0, v59
	v_add_f32_e32 v0, v12, v47
	v_fmamk_f32 v4, v6, 0x3f5db3d7, v2
	v_fmac_f32_e32 v2, 0xbf5db3d7, v6
	v_sub_f32_e32 v6, v49, v62
	buffer_store_dword v8, off, s[20:23], 0 offset:248 ; 4-byte Folded Spill
	v_add_f32_e32 v0, v0, v51
	ds_write_b64 v8, v[2:3] offset:128
	v_add_f32_e32 v3, v50, v63
	ds_write2_b64 v8, v[0:1], v[4:5] offset1:8
	v_lshrrev_b32_e32 v0, 3, v61
	v_add_f32_e32 v5, v49, v62
	v_sub_f32_e32 v4, v50, v63
	v_mul_u32_u24_e32 v0, 24, v0
	v_or_b32_e32 v2, v0, v46
	v_add_f32_e32 v0, v15, v50
	v_fmac_f32_e32 v15, -0.5, v3
	v_add_f32_e32 v1, v0, v63
	v_add_f32_e32 v0, v14, v49
	v_fma_f32 v14, -0.5, v5, v14
	v_lshlrev_b32_e32 v5, 3, v2
	v_fmamk_f32 v3, v6, 0xbf5db3d7, v15
	v_fmac_f32_e32 v15, 0x3f5db3d7, v6
	v_add_f32_e32 v0, v0, v62
	v_fmamk_f32 v2, v4, 0x3f5db3d7, v14
	v_fmac_f32_e32 v14, 0xbf5db3d7, v4
	buffer_store_dword v5, off, s[20:23], 0 offset:252 ; 4-byte Folded Spill
	ds_write2_b64 v5, v[0:1], v[2:3] offset1:8
	v_and_b32_e32 v0, 0xff, v64
	v_and_b32_e32 v1, 0xff, v57
	ds_write_b64 v5, v[14:15] offset:128
	s_waitcnt lgkmcnt(0)
	s_waitcnt_vscnt null, 0x0
	s_barrier
	v_mul_lo_u16 v0, 0xab, v0
	v_mul_lo_u16 v1, 0xab, v1
	buffer_gl0_inv
	v_lshrrev_b16 v4, 12, v0
	v_lshrrev_b16 v59, 12, v1
	v_mul_lo_u16 v0, v4, 24
	v_mul_lo_u16 v1, v59, 24
	;; [unrolled: 1-line block ×3, first 2 shown]
	v_sub_nc_u16 v0, v64, v0
	v_sub_nc_u16 v1, v57, v1
	v_and_b32_e32 v4, 0xf8, v4
	v_and_b32_e32 v5, 0xff, v0
	;; [unrolled: 1-line block ×3, first 2 shown]
	v_lshlrev_b32_e32 v0, 4, v5
	v_lshlrev_b32_e32 v1, 4, v62
	s_clause 0x1
	global_load_dwordx4 v[32:35], v0, s[14:15] offset:176
	global_load_dwordx4 v[16:19], v1, s[14:15] offset:176
	ds_read2_b64 v[0:3], v52 offset0:120 offset1:183
	v_add_lshl_u32 v149, v4, v5, 3
	s_waitcnt vmcnt(1) lgkmcnt(0)
	v_mul_f32_e32 v6, v1, v33
	v_mul_f32_e32 v7, v0, v33
	s_waitcnt vmcnt(0)
	v_mul_f32_e32 v76, v2, v17
	v_fma_f32 v6, v0, v32, -v6
	v_mul_f32_e32 v0, v3, v17
	v_fmac_f32_e32 v7, v1, v32
	v_fmac_f32_e32 v76, v3, v16
	v_fma_f32 v63, v2, v16, -v0
	ds_read2_b64 v[0:3], v74 offset0:112 offset1:175
	s_waitcnt lgkmcnt(0)
	v_mul_f32_e32 v8, v1, v35
	v_mul_f32_e32 v9, v0, v35
	;; [unrolled: 1-line block ×3, first 2 shown]
	v_fma_f32 v8, v0, v34, -v8
	v_mul_f32_e32 v0, v3, v19
	v_fmac_f32_e32 v9, v1, v34
	v_fmac_f32_e32 v78, v3, v18
	v_sub_f32_e32 v147, v6, v8
	v_fma_f32 v77, v2, v18, -v0
	v_mul_lo_u16 v0, 0xab, v79
	v_sub_f32_e32 v146, v7, v9
	v_lshrrev_b16 v80, 12, v0
	v_mul_lo_u16 v0, 0xab, v83
	v_lshrrev_b16 v81, 12, v0
	v_mul_lo_u16 v0, v80, 24
	v_mul_lo_u16 v1, v81, 24
	v_sub_nc_u16 v0, v56, v0
	v_sub_nc_u16 v1, v130, v1
	v_and_b32_e32 v82, 0xff, v0
	v_and_b32_e32 v88, 0xff, v1
	v_lshlrev_b32_e32 v0, 4, v82
	v_lshlrev_b32_e32 v1, 4, v88
	s_clause 0x1
	global_load_dwordx4 v[40:43], v0, s[14:15] offset:176
	global_load_dwordx4 v[20:23], v1, s[14:15] offset:176
	ds_read2_b64 v[0:3], v72 offset0:118 offset1:181
	s_waitcnt vmcnt(1) lgkmcnt(0)
	v_mul_f32_e32 v10, v1, v41
	v_mul_f32_e32 v90, v0, v41
	s_waitcnt vmcnt(0)
	v_mul_f32_e32 v96, v2, v21
	v_fma_f32 v89, v0, v40, -v10
	v_mul_f32_e32 v0, v3, v21
	v_fmac_f32_e32 v90, v1, v40
	v_fmac_f32_e32 v96, v3, v20
	v_fma_f32 v91, v2, v20, -v0
	ds_read2_b64 v[0:3], v65 offset0:110 offset1:173
	s_waitcnt lgkmcnt(0)
	v_mul_f32_e32 v10, v1, v43
	v_mul_f32_e32 v98, v0, v43
	;; [unrolled: 1-line block ×3, first 2 shown]
	v_fma_f32 v97, v0, v42, -v10
	v_mul_f32_e32 v0, v3, v23
	v_mov_b32_e32 v10, 0xaaab
	v_fmac_f32_e32 v98, v1, v42
	v_fmac_f32_e32 v112, v3, v22
	v_fma_f32 v99, v2, v22, -v0
	v_mul_u32_u24_sdwa v0, v55, v10 dst_sel:DWORD dst_unused:UNUSED_PAD src0_sel:WORD_0 src1_sel:DWORD
	v_lshrrev_b32_e32 v113, 20, v0
	v_mul_u32_u24_sdwa v0, v54, v10 dst_sel:DWORD dst_unused:UNUSED_PAD src0_sel:WORD_0 src1_sel:DWORD
	v_lshrrev_b32_e32 v114, 20, v0
	v_mul_lo_u16 v0, v113, 24
	v_sub_nc_u16 v115, v55, v0
	v_mul_lo_u16 v0, v114, 24
	v_sub_nc_u16 v116, v54, v0
	v_lshlrev_b16 v0, 4, v115
	v_lshlrev_b16 v1, 4, v116
	v_and_b32_e32 v0, 0xffff, v0
	v_and_b32_e32 v2, 0xffff, v1
	v_add_co_u32 v0, s0, s14, v0
	v_add_co_ci_u32_e64 v1, null, s15, 0, s0
	v_add_co_u32 v2, s0, s14, v2
	v_add_co_ci_u32_e64 v3, null, s15, 0, s0
	s_clause 0x1
	global_load_dwordx4 v[44:47], v[0:1], off offset:176
	global_load_dwordx4 v[28:31], v[2:3], off offset:176
	ds_read2_b64 v[0:3], v73 offset0:116 offset1:179
	s_waitcnt vmcnt(1) lgkmcnt(0)
	v_mul_f32_e32 v11, v1, v45
	v_mul_f32_e32 v118, v0, v45
	s_waitcnt vmcnt(0)
	v_mul_f32_e32 v128, v2, v29
	v_fma_f32 v117, v0, v44, -v11
	v_mul_f32_e32 v0, v3, v29
	v_fmac_f32_e32 v118, v1, v44
	v_fmac_f32_e32 v128, v3, v28
	v_fma_f32 v119, v2, v28, -v0
	ds_read2_b64 v[0:3], v60 offset0:108 offset1:171
	s_waitcnt lgkmcnt(0)
	v_mul_f32_e32 v11, v1, v47
	v_mul_f32_e32 v131, v0, v47
	;; [unrolled: 1-line block ×3, first 2 shown]
	v_fma_f32 v129, v0, v46, -v11
	v_mul_f32_e32 v0, v3, v31
	v_fmac_f32_e32 v131, v1, v46
	v_mul_u32_u24_sdwa v1, v61, v10 dst_sel:DWORD dst_unused:UNUSED_PAD src0_sel:WORD_0 src1_sel:DWORD
	v_fmac_f32_e32 v133, v3, v30
	v_fma_f32 v132, v2, v30, -v0
	v_mul_u32_u24_sdwa v0, v53, v10 dst_sel:DWORD dst_unused:UNUSED_PAD src0_sel:WORD_0 src1_sel:DWORD
	v_lshrrev_b32_e32 v135, 20, v1
	v_lshrrev_b32_e32 v134, 20, v0
	v_mul_lo_u16 v0, v134, 24
	v_sub_nc_u16 v136, v53, v0
	v_mul_lo_u16 v0, v135, 24
	v_sub_nc_u16 v137, v61, v0
	v_lshlrev_b16 v0, 4, v136
	v_lshlrev_b16 v1, 4, v137
	v_and_b32_e32 v0, 0xffff, v0
	v_and_b32_e32 v2, 0xffff, v1
	v_add_co_u32 v0, s0, s14, v0
	v_add_co_ci_u32_e64 v1, null, s15, 0, s0
	v_add_co_u32 v2, s0, s14, v2
	v_add_co_ci_u32_e64 v3, null, s15, 0, s0
	s_clause 0x1
	global_load_dwordx4 v[48:51], v[0:1], off offset:176
	global_load_dwordx4 v[36:39], v[2:3], off offset:176
	ds_read2_b64 v[0:3], v66 offset0:114 offset1:177
	s_waitcnt vmcnt(1) lgkmcnt(0)
	v_mul_f32_e32 v10, v1, v49
	v_mul_f32_e32 v139, v0, v49
	s_waitcnt vmcnt(0)
	v_mul_f32_e32 v141, v2, v37
	v_fma_f32 v138, v0, v48, -v10
	v_mul_f32_e32 v0, v3, v37
	v_fmac_f32_e32 v139, v1, v48
	v_fmac_f32_e32 v141, v3, v36
	v_fma_f32 v140, v2, v36, -v0
	ds_read2_b64 v[0:3], v67 offset0:106 offset1:169
	s_waitcnt lgkmcnt(0)
	v_mul_f32_e32 v10, v1, v51
	v_mul_f32_e32 v143, v0, v51
	;; [unrolled: 1-line block ×3, first 2 shown]
	v_fma_f32 v142, v0, v50, -v10
	v_mul_f32_e32 v0, v3, v39
	v_fmac_f32_e32 v143, v1, v50
	v_fmac_f32_e32 v145, v3, v38
	v_fma_f32 v144, v2, v38, -v0
	ds_read2_b64 v[0:3], v255 offset1:63
	s_waitcnt lgkmcnt(0)
	v_add_f32_e32 v10, v1, v7
	v_add_f32_e32 v7, v7, v9
	;; [unrolled: 1-line block ×4, first 2 shown]
	v_fma_f32 v1, -0.5, v7, v1
	v_add_f32_e32 v24, v9, v8
	v_add_f32_e32 v9, v6, v8
	v_fmamk_f32 v27, v147, 0xbf5db3d7, v1
	v_fmac_f32_e32 v1, 0x3f5db3d7, v147
	v_fma_f32 v0, -0.5, v9, v0
	ds_read2_b64 v[4:7], v255 offset0:126 offset1:189
	ds_read2_b64 v[8:11], v75 offset0:124 offset1:187
	ds_read2_b64 v[12:15], v170 offset0:122 offset1:185
	s_waitcnt lgkmcnt(0)
	s_barrier
	buffer_gl0_inv
	v_fmamk_f32 v26, v146, 0x3f5db3d7, v0
	v_fmac_f32_e32 v0, 0xbf5db3d7, v146
	buffer_store_dword v149, off, s[20:23], 0 offset:204 ; 4-byte Folded Spill
	ds_write2_b64 v149, v[24:25], v[26:27] offset1:24
	ds_write_b64 v149, v[0:1] offset:384
	v_add_f32_e32 v0, v3, v76
	v_add_f32_e32 v24, v76, v78
	v_add_f32_e32 v25, v63, v77
	v_sub_f32_e32 v27, v63, v77
	v_sub_f32_e32 v26, v76, v78
	v_add_f32_e32 v1, v0, v78
	v_add_f32_e32 v0, v2, v63
	v_mov_b32_e32 v63, 0x48
	v_fma_f32 v2, -0.5, v25, v2
	v_fmac_f32_e32 v3, -0.5, v24
	v_mov_b32_e32 v76, 3
	v_add_f32_e32 v0, v0, v77
	v_mul_u32_u24_sdwa v24, v59, v63 dst_sel:DWORD dst_unused:UNUSED_PAD src0_sel:WORD_0 src1_sel:DWORD
	v_fmamk_f32 v25, v27, 0xbf5db3d7, v3
	v_fmac_f32_e32 v3, 0x3f5db3d7, v27
	v_add_lshl_u32 v59, v24, v62, 3
	v_fmamk_f32 v24, v26, 0x3f5db3d7, v2
	v_fmac_f32_e32 v2, 0xbf5db3d7, v26
	v_mov_b32_e32 v62, 0xe38f
	buffer_store_dword v59, off, s[20:23], 0 offset:208 ; 4-byte Folded Spill
	ds_write2_b64 v59, v[0:1], v[24:25] offset1:24
	ds_write_b64 v59, v[2:3] offset:384
	v_add_f32_e32 v0, v5, v90
	v_add_f32_e32 v3, v90, v98
	;; [unrolled: 1-line block ×3, first 2 shown]
	v_sub_f32_e32 v24, v90, v98
	v_sub_f32_e32 v25, v89, v97
	v_add_f32_e32 v1, v0, v98
	v_add_f32_e32 v0, v4, v89
	v_fma_f32 v2, -0.5, v2, v4
	v_fma_f32 v3, -0.5, v3, v5
	v_mul_u32_u24_sdwa v4, v80, v63 dst_sel:DWORD dst_unused:UNUSED_PAD src0_sel:WORD_0 src1_sel:DWORD
	v_add_f32_e32 v0, v0, v97
	v_fmamk_f32 v5, v25, 0xbf5db3d7, v3
	v_add_lshl_u32 v26, v4, v82, 3
	v_fmamk_f32 v4, v24, 0x3f5db3d7, v2
	v_fmac_f32_e32 v2, 0xbf5db3d7, v24
	v_fmac_f32_e32 v3, 0x3f5db3d7, v25
	v_sub_f32_e32 v24, v91, v99
	buffer_store_dword v26, off, s[20:23], 0 offset:212 ; 4-byte Folded Spill
	ds_write2_b64 v26, v[0:1], v[4:5] offset1:24
	v_add_f32_e32 v0, v7, v96
	ds_write_b64 v26, v[2:3] offset:384
	v_add_f32_e32 v3, v96, v112
	v_add_f32_e32 v5, v91, v99
	v_mul_u32_u24_sdwa v2, v81, v63 dst_sel:DWORD dst_unused:UNUSED_PAD src0_sel:WORD_0 src1_sel:DWORD
	v_sub_f32_e32 v4, v96, v112
	v_add_f32_e32 v1, v0, v112
	v_add_f32_e32 v0, v6, v91
	v_fma_f32 v6, -0.5, v5, v6
	v_fmac_f32_e32 v7, -0.5, v3
	v_add_lshl_u32 v5, v2, v88, 3
	v_add_f32_e32 v0, v0, v99
	v_fmamk_f32 v2, v4, 0x3f5db3d7, v6
	v_fmamk_f32 v3, v24, 0xbf5db3d7, v7
	v_fmac_f32_e32 v6, 0xbf5db3d7, v4
	v_fmac_f32_e32 v7, 0x3f5db3d7, v24
	v_mad_u16 v4, 0x48, v113, v115
	buffer_store_dword v5, off, s[20:23], 0 offset:216 ; 4-byte Folded Spill
	ds_write2_b64 v5, v[0:1], v[2:3] offset1:24
	v_add_f32_e32 v0, v9, v118
	v_add_f32_e32 v3, v118, v131
	;; [unrolled: 1-line block ×3, first 2 shown]
	ds_write_b64 v5, v[6:7] offset:384
	v_sub_f32_e32 v6, v118, v131
	v_add_f32_e32 v1, v0, v131
	v_add_f32_e32 v0, v8, v117
	v_sub_f32_e32 v7, v117, v129
	v_fma_f32 v2, -0.5, v2, v8
	v_fma_f32 v3, -0.5, v3, v9
	v_lshlrev_b32_sdwa v8, v76, v4 dst_sel:DWORD dst_unused:UNUSED_PAD src0_sel:DWORD src1_sel:WORD_0
	v_add_f32_e32 v0, v0, v129
	v_fmamk_f32 v4, v6, 0x3f5db3d7, v2
	v_fmamk_f32 v5, v7, 0xbf5db3d7, v3
	v_fmac_f32_e32 v2, 0xbf5db3d7, v6
	v_fmac_f32_e32 v3, 0x3f5db3d7, v7
	v_sub_f32_e32 v6, v119, v132
	v_sub_f32_e32 v7, v138, v142
	ds_write2_b64 v8, v[0:1], v[4:5] offset1:24
	v_add_f32_e32 v0, v11, v128
	ds_write_b64 v8, v[2:3] offset:384
	v_add_f32_e32 v3, v128, v133
	v_add_f32_e32 v5, v119, v132
	v_mad_u16 v2, 0x48, v114, v116
	v_sub_f32_e32 v4, v128, v133
	v_add_f32_e32 v1, v0, v133
	v_add_f32_e32 v0, v10, v119
	v_fma_f32 v10, -0.5, v5, v10
	v_fmac_f32_e32 v11, -0.5, v3
	v_lshlrev_b32_sdwa v5, v76, v2 dst_sel:DWORD dst_unused:UNUSED_PAD src0_sel:DWORD src1_sel:WORD_0
	buffer_store_dword v8, off, s[20:23], 0 offset:220 ; 4-byte Folded Spill
	v_add_f32_e32 v0, v0, v132
	v_fmamk_f32 v2, v4, 0x3f5db3d7, v10
	v_fmamk_f32 v3, v6, 0xbf5db3d7, v11
	v_fmac_f32_e32 v10, 0xbf5db3d7, v4
	v_fmac_f32_e32 v11, 0x3f5db3d7, v6
	v_mad_u16 v4, 0x48, v134, v136
	v_sub_f32_e32 v6, v139, v143
	ds_write2_b64 v5, v[0:1], v[2:3] offset1:24
	v_add_f32_e32 v0, v13, v139
	v_add_f32_e32 v3, v139, v143
	;; [unrolled: 1-line block ×3, first 2 shown]
	buffer_store_dword v5, off, s[20:23], 0 offset:224 ; 4-byte Folded Spill
	ds_write_b64 v5, v[10:11] offset:384
	v_add_f32_e32 v1, v0, v143
	v_add_f32_e32 v0, v12, v138
	v_fma_f32 v2, -0.5, v2, v12
	v_fma_f32 v3, -0.5, v3, v13
	v_lshlrev_b32_sdwa v8, v76, v4 dst_sel:DWORD dst_unused:UNUSED_PAD src0_sel:DWORD src1_sel:WORD_0
	v_add_f32_e32 v0, v0, v142
	v_fmamk_f32 v4, v6, 0x3f5db3d7, v2
	v_fmamk_f32 v5, v7, 0xbf5db3d7, v3
	v_fmac_f32_e32 v2, 0xbf5db3d7, v6
	v_fmac_f32_e32 v3, 0x3f5db3d7, v7
	v_sub_f32_e32 v6, v140, v144
	buffer_store_dword v8, off, s[20:23], 0 offset:228 ; 4-byte Folded Spill
	ds_write2_b64 v8, v[0:1], v[4:5] offset1:24
	v_add_f32_e32 v0, v15, v141
	ds_write_b64 v8, v[2:3] offset:384
	v_add_f32_e32 v3, v141, v145
	v_add_f32_e32 v5, v140, v144
	v_mad_u16 v2, 0x48, v135, v137
	v_sub_f32_e32 v4, v141, v145
	v_add_f32_e32 v1, v0, v145
	v_add_f32_e32 v0, v14, v140
	v_fma_f32 v14, -0.5, v5, v14
	v_fmac_f32_e32 v15, -0.5, v3
	v_lshlrev_b32_sdwa v5, v76, v2 dst_sel:DWORD dst_unused:UNUSED_PAD src0_sel:DWORD src1_sel:WORD_0
	v_add_f32_e32 v0, v0, v144
	v_fmamk_f32 v2, v4, 0x3f5db3d7, v14
	v_fmamk_f32 v3, v6, 0xbf5db3d7, v15
	v_fmac_f32_e32 v14, 0xbf5db3d7, v4
	v_fmac_f32_e32 v15, 0x3f5db3d7, v6
	buffer_store_dword v5, off, s[20:23], 0 offset:232 ; 4-byte Folded Spill
	ds_write2_b64 v5, v[0:1], v[2:3] offset1:24
	v_mul_lo_u16 v2, v79, 57
	ds_write_b64 v5, v[14:15] offset:384
	s_waitcnt lgkmcnt(0)
	s_waitcnt_vscnt null, 0x0
	s_barrier
	buffer_gl0_inv
	global_load_dwordx4 v[8:11], v148, s[14:15] offset:560
	ds_read2_b64 v[12:15], v52 offset0:120 offset1:183
	v_add_co_u32 v0, s0, v199, -9
	v_lshrrev_b16 v114, 12, v2
	v_add_co_ci_u32_e64 v1, null, 0, -1, s0
	v_cndmask_b32_e32 v81, v0, v57, vcc_lo
	buffer_store_dword v148, off, s[20:23], 0 offset:200 ; 4-byte Folded Spill
	v_mul_lo_u16 v2, 0x48, v114
	v_cndmask_b32_e32 v82, v1, v58, vcc_lo
	v_sub_nc_u16 v2, v56, v2
	v_lshlrev_b64 v[0:1], 4, v[81:82]
	v_and_b32_e32 v115, 0xff, v2
	v_add_co_u32 v0, vcc_lo, s14, v0
	v_add_co_ci_u32_e32 v1, vcc_lo, s15, v1, vcc_lo
	v_cmp_lt_u16_e32 vcc_lo, 8, v64
	s_waitcnt vmcnt(0) lgkmcnt(0)
	v_mul_f32_e32 v2, v13, v9
	v_mul_f32_e32 v82, v12, v9
	v_fma_f32 v88, v12, v8, -v2
	v_lshlrev_b32_e32 v2, 4, v115
	s_clause 0x1
	global_load_dwordx4 v[4:7], v[0:1], off offset:560
	global_load_dwordx4 v[0:3], v2, s[14:15] offset:560
	v_fmac_f32_e32 v82, v13, v8
	s_waitcnt vmcnt(1)
	v_mul_f32_e32 v12, v15, v5
	v_mul_f32_e32 v117, v14, v5
	v_fma_f32 v116, v14, v4, -v12
	v_fmac_f32_e32 v117, v15, v4
	ds_read2_b64 v[12:15], v74 offset0:112 offset1:175
	s_waitcnt lgkmcnt(0)
	v_mul_f32_e32 v24, v13, v11
	v_mul_f32_e32 v90, v12, v11
	;; [unrolled: 1-line block ×3, first 2 shown]
	v_fma_f32 v89, v12, v10, -v24
	v_mul_f32_e32 v12, v15, v7
	v_fmac_f32_e32 v90, v13, v10
	v_fmac_f32_e32 v119, v15, v6
	v_sub_f32_e32 v167, v88, v89
	v_fma_f32 v118, v14, v6, -v12
	v_mul_u32_u24_sdwa v12, v55, v62 dst_sel:DWORD dst_unused:UNUSED_PAD src0_sel:WORD_0 src1_sel:DWORD
	v_sub_f32_e32 v166, v82, v90
	v_add_f32_e32 v91, v82, v90
	v_lshrrev_b32_e32 v128, 22, v12
	v_mul_lo_u16 v12, 0x48, v128
	v_sub_nc_u16 v129, v55, v12
	v_mul_lo_u16 v12, v83, 57
	ds_read2_b64 v[55:58], v72 offset0:118 offset1:181
	v_lshlrev_b16 v13, 4, v129
	v_lshrrev_b16 v131, 12, v12
	v_and_b32_e32 v13, 0xffff, v13
	v_mul_lo_u16 v12, 0x48, v131
	v_sub_nc_u16 v12, v130, v12
	v_and_b32_e32 v132, 0xff, v12
	v_add_co_u32 v12, s0, s14, v13
	v_add_co_ci_u32_e64 v13, null, s15, 0, s0
	s_waitcnt vmcnt(0) lgkmcnt(0)
	v_mul_f32_e32 v14, v56, v1
	v_lshlrev_b32_e32 v24, 4, v132
	v_mul_f32_e32 v134, v55, v1
	v_fma_f32 v133, v55, v0, -v14
	s_clause 0x1
	global_load_dwordx4 v[12:15], v[12:13], off offset:560
	global_load_dwordx4 v[24:27], v24, s[14:15] offset:560
	v_fmac_f32_e32 v134, v56, v0
	ds_read2_b64 v[77:80], v73 offset0:116 offset1:179
	s_waitcnt vmcnt(1) lgkmcnt(0)
	v_mul_f32_e32 v150, v77, v13
	s_waitcnt vmcnt(0)
	v_mul_f32_e32 v52, v58, v25
	v_mul_f32_e32 v136, v57, v25
	v_fmac_f32_e32 v150, v78, v12
	v_fma_f32 v135, v57, v24, -v52
	v_fmac_f32_e32 v136, v58, v24
	ds_read2_b64 v[55:58], v65 offset0:110 offset1:173
	s_waitcnt lgkmcnt(0)
	v_mul_f32_e32 v52, v56, v3
	v_mul_f32_e32 v138, v55, v3
	;; [unrolled: 1-line block ×3, first 2 shown]
	v_fma_f32 v137, v55, v2, -v52
	v_mul_f32_e32 v52, v58, v27
	v_fmac_f32_e32 v138, v56, v2
	v_mul_f32_e32 v56, v78, v13
	v_fmac_f32_e32 v140, v58, v26
	v_fma_f32 v139, v57, v26, -v52
	v_mul_u32_u24_sdwa v52, v54, v62 dst_sel:DWORD dst_unused:UNUSED_PAD src0_sel:WORD_0 src1_sel:DWORD
	v_fma_f32 v149, v77, v12, -v56
	v_lshrrev_b32_e32 v141, 22, v52
	v_mul_lo_u16 v52, 0x48, v141
	v_sub_nc_u16 v146, v54, v52
	v_mul_u32_u24_sdwa v52, v53, v62 dst_sel:DWORD dst_unused:UNUSED_PAD src0_sel:WORD_0 src1_sel:DWORD
	v_lshrrev_b32_e32 v147, 22, v52
	v_mul_lo_u16 v52, 0x48, v147
	v_sub_nc_u16 v148, v53, v52
	v_lshlrev_b16 v52, 4, v146
	v_lshlrev_b16 v53, 4, v148
	v_and_b32_e32 v52, 0xffff, v52
	v_and_b32_e32 v54, 0xffff, v53
	v_add_co_u32 v52, s0, s14, v52
	v_add_co_ci_u32_e64 v53, null, s15, 0, s0
	v_add_co_u32 v54, s0, s14, v54
	v_add_co_ci_u32_e64 v55, null, s15, 0, s0
	s_clause 0x1
	global_load_dwordx4 v[56:59], v[52:53], off offset:560
	global_load_dwordx4 v[52:55], v[54:55], off offset:560
	s_waitcnt vmcnt(1)
	v_mul_f32_e32 v63, v80, v57
	v_mul_f32_e32 v152, v79, v57
	v_fma_f32 v151, v79, v56, -v63
	v_fmac_f32_e32 v152, v80, v56
	ds_read2_b64 v[77:80], v60 offset0:108 offset1:171
	s_waitcnt lgkmcnt(0)
	v_mul_f32_e32 v60, v78, v15
	v_mul_f32_e32 v154, v77, v15
	;; [unrolled: 1-line block ×3, first 2 shown]
	v_fma_f32 v153, v77, v14, -v60
	v_mul_f32_e32 v60, v80, v59
	v_fmac_f32_e32 v154, v78, v14
	v_fmac_f32_e32 v156, v80, v58
	v_fma_f32 v155, v79, v58, -v60
	v_mul_u32_u24_sdwa v60, v61, v62 dst_sel:DWORD dst_unused:UNUSED_PAD src0_sel:WORD_0 src1_sel:DWORD
	ds_read2_b64 v[77:80], v66 offset0:114 offset1:177
	v_lshrrev_b32_e32 v60, 22, v60
	v_mul_lo_u16 v60, 0x48, v60
	v_sub_nc_u16 v157, v61, v60
	v_lshlrev_b16 v60, 4, v157
	s_waitcnt vmcnt(0) lgkmcnt(0)
	v_mul_f32_e32 v62, v78, v53
	v_mul_f32_e32 v159, v77, v53
	v_and_b32_e32 v60, 0xffff, v60
	v_fma_f32 v158, v77, v52, -v62
	v_fmac_f32_e32 v159, v78, v52
	v_add_co_u32 v60, s0, s14, v60
	v_add_co_ci_u32_e64 v61, null, s15, 0, s0
	global_load_dwordx4 v[60:63], v[60:61], off offset:560
	s_waitcnt vmcnt(0)
	v_mul_f32_e32 v77, v80, v61
	v_mul_f32_e32 v161, v79, v61
	v_fma_f32 v160, v79, v60, -v77
	v_fmac_f32_e32 v161, v80, v60
	ds_read2_b64 v[77:80], v67 offset0:106 offset1:169
	s_waitcnt lgkmcnt(0)
	v_mul_f32_e32 v83, v78, v55
	v_mul_f32_e32 v163, v77, v55
	v_mul_f32_e32 v165, v79, v63
	v_fma_f32 v162, v77, v54, -v83
	v_mul_f32_e32 v77, v80, v63
	v_fmac_f32_e32 v163, v78, v54
	v_fmac_f32_e32 v165, v80, v62
	v_fma_f32 v164, v79, v62, -v77
	ds_read2_b64 v[77:80], v255 offset1:63
	s_waitcnt lgkmcnt(0)
	v_add_f32_e32 v83, v78, v82
	v_add_f32_e32 v82, v77, v88
	v_fma_f32 v78, -0.5, v91, v78
	v_add_f32_e32 v83, v83, v90
	v_add_f32_e32 v90, v88, v89
	;; [unrolled: 1-line block ×3, first 2 shown]
	v_fmamk_f32 v113, v167, 0xbf5db3d7, v78
	v_fmac_f32_e32 v78, 0x3f5db3d7, v167
	v_fma_f32 v77, -0.5, v90, v77
	ds_read2_b64 v[88:91], v75 offset0:124 offset1:187
	ds_read2_b64 v[96:99], v255 offset0:126 offset1:189
	;; [unrolled: 1-line block ×3, first 2 shown]
	v_cndmask_b32_e64 v75, 0, 0xd8, vcc_lo
	s_waitcnt lgkmcnt(0)
	s_waitcnt_vscnt null, 0x0
	s_barrier
	v_fmamk_f32 v112, v166, 0x3f5db3d7, v77
	buffer_gl0_inv
	v_fmac_f32_e32 v77, 0xbf5db3d7, v166
	v_cmp_gt_u16_e32 vcc_lo, 27, v64
	ds_write2_b64 v255, v[82:83], v[112:113] offset1:72
	v_add_lshl_u32 v113, v81, v75, 3
	v_add_f32_e32 v75, v80, v117
	ds_write_b64 v255, v[77:78] offset:1152
	v_add_f32_e32 v81, v117, v119
	v_sub_f32_e32 v83, v117, v119
	v_sub_f32_e32 v112, v116, v118
	v_add_f32_e32 v78, v75, v119
	v_add_f32_e32 v75, v79, v116
	v_fmac_f32_e32 v80, -0.5, v81
	buffer_store_dword v113, off, s[20:23], 0 offset:236 ; 4-byte Folded Spill
	v_add_f32_e32 v77, v75, v118
	v_add_f32_e32 v75, v116, v118
	v_fmamk_f32 v82, v112, 0xbf5db3d7, v80
	v_fmac_f32_e32 v80, 0x3f5db3d7, v112
	v_sub_f32_e32 v112, v133, v137
	v_fma_f32 v79, -0.5, v75, v79
	v_add_f32_e32 v75, v97, v134
	v_fmamk_f32 v81, v83, 0x3f5db3d7, v79
	v_fmac_f32_e32 v79, 0xbf5db3d7, v83
	v_sub_f32_e32 v83, v134, v138
	ds_write2_b64 v113, v[77:78], v[81:82] offset1:72
	v_add_f32_e32 v78, v75, v138
	v_add_f32_e32 v75, v96, v133
	ds_write_b64 v113, v[79:80] offset:1152
	v_add_f32_e32 v80, v134, v138
	v_add_f32_e32 v77, v75, v137
	;; [unrolled: 1-line block ×3, first 2 shown]
	v_fma_f32 v80, -0.5, v80, v97
	v_fma_f32 v79, -0.5, v75, v96
	v_mov_b32_e32 v75, 0xd8
	v_fmamk_f32 v82, v112, 0xbf5db3d7, v80
	v_fmac_f32_e32 v80, 0x3f5db3d7, v112
	v_mul_u32_u24_sdwa v81, v114, v75 dst_sel:DWORD dst_unused:UNUSED_PAD src0_sel:WORD_0 src1_sel:DWORD
	v_mul_u32_u24_sdwa v75, v131, v75 dst_sel:DWORD dst_unused:UNUSED_PAD src0_sel:WORD_0 src1_sel:DWORD
	v_add_lshl_u32 v96, v81, v115, 3
	v_fmamk_f32 v81, v83, 0x3f5db3d7, v79
	v_fmac_f32_e32 v79, 0xbf5db3d7, v83
	v_add_lshl_u32 v75, v75, v132, 3
	v_sub_f32_e32 v83, v150, v154
	buffer_store_dword v96, off, s[20:23], 0 offset:244 ; 4-byte Folded Spill
	ds_write2_b64 v96, v[77:78], v[81:82] offset1:72
	ds_write_b64 v96, v[79:80] offset:1152
	v_add_f32_e32 v77, v99, v136
	v_add_f32_e32 v79, v136, v140
	v_add_f32_e32 v80, v135, v139
	v_sub_f32_e32 v81, v136, v140
	v_sub_f32_e32 v82, v135, v139
	v_add_f32_e32 v78, v77, v140
	v_add_f32_e32 v77, v98, v135
	v_fma_f32 v98, -0.5, v80, v98
	v_fmac_f32_e32 v99, -0.5, v79
	buffer_store_dword v75, off, s[20:23], 0 offset:256 ; 4-byte Folded Spill
	v_sub_f32_e32 v96, v149, v153
	v_add_f32_e32 v77, v77, v139
	v_fmamk_f32 v79, v81, 0x3f5db3d7, v98
	v_fmamk_f32 v80, v82, 0xbf5db3d7, v99
	v_fmac_f32_e32 v98, 0xbf5db3d7, v81
	v_fmac_f32_e32 v99, 0x3f5db3d7, v82
	ds_write2_b64 v75, v[77:78], v[79:80] offset1:72
	v_add_f32_e32 v77, v89, v150
	v_add_f32_e32 v80, v150, v154
	;; [unrolled: 1-line block ×3, first 2 shown]
	ds_write_b64 v75, v[98:99] offset:1152
	v_mad_u16 v75, 0xd8, v128, v129
	v_add_f32_e32 v78, v77, v154
	v_add_f32_e32 v77, v88, v149
	v_fma_f32 v79, -0.5, v79, v88
	v_fma_f32 v80, -0.5, v80, v89
	v_lshlrev_b32_sdwa v75, v76, v75 dst_sel:DWORD dst_unused:UNUSED_PAD src0_sel:DWORD src1_sel:WORD_0
	v_sub_f32_e32 v88, v158, v162
	v_add_f32_e32 v77, v77, v153
	v_fmamk_f32 v81, v83, 0x3f5db3d7, v79
	v_fmamk_f32 v82, v96, 0xbf5db3d7, v80
	v_fmac_f32_e32 v79, 0xbf5db3d7, v83
	v_fmac_f32_e32 v80, 0x3f5db3d7, v96
	buffer_store_dword v75, off, s[20:23], 0 offset:264 ; 4-byte Folded Spill
	v_sub_f32_e32 v83, v159, v163
	ds_write2_b64 v75, v[77:78], v[81:82] offset1:72
	v_add_f32_e32 v77, v91, v152
	ds_write_b64 v75, v[79:80] offset:1152
	v_add_f32_e32 v79, v152, v156
	v_add_f32_e32 v80, v151, v155
	v_mad_u16 v75, 0xd8, v141, v146
	v_sub_f32_e32 v81, v152, v156
	v_add_f32_e32 v78, v77, v156
	v_add_f32_e32 v77, v90, v151
	v_sub_f32_e32 v82, v151, v155
	v_fma_f32 v90, -0.5, v80, v90
	v_fmac_f32_e32 v91, -0.5, v79
	v_lshlrev_b32_sdwa v75, v76, v75 dst_sel:DWORD dst_unused:UNUSED_PAD src0_sel:DWORD src1_sel:WORD_0
	v_add_f32_e32 v77, v77, v155
	v_fmamk_f32 v79, v81, 0x3f5db3d7, v90
	v_fmamk_f32 v80, v82, 0xbf5db3d7, v91
	v_fmac_f32_e32 v90, 0xbf5db3d7, v81
	v_fmac_f32_e32 v91, 0x3f5db3d7, v82
	buffer_store_dword v75, off, s[20:23], 0 offset:268 ; 4-byte Folded Spill
	ds_write2_b64 v75, v[77:78], v[79:80] offset1:72
	v_add_f32_e32 v77, v143, v159
	v_add_f32_e32 v80, v159, v163
	;; [unrolled: 1-line block ×3, first 2 shown]
	ds_write_b64 v75, v[90:91] offset:1152
	v_mad_u16 v75, 0xd8, v147, v148
	v_add_f32_e32 v78, v77, v163
	v_add_f32_e32 v77, v142, v158
	v_fma_f32 v79, -0.5, v79, v142
	v_fma_f32 v80, -0.5, v80, v143
	v_lshlrev_b32_sdwa v75, v76, v75 dst_sel:DWORD dst_unused:UNUSED_PAD src0_sel:DWORD src1_sel:WORD_0
	v_lshlrev_b32_sdwa v76, v76, v157 dst_sel:DWORD dst_unused:UNUSED_PAD src0_sel:DWORD src1_sel:WORD_0
	v_add_f32_e32 v77, v77, v162
	v_fmamk_f32 v81, v83, 0x3f5db3d7, v79
	v_fmamk_f32 v82, v88, 0xbf5db3d7, v80
	v_fmac_f32_e32 v79, 0xbf5db3d7, v83
	v_fmac_f32_e32 v80, 0x3f5db3d7, v88
	buffer_store_dword v75, off, s[20:23], 0 offset:288 ; 4-byte Folded Spill
	v_add_nc_u32_e32 v64, 0x2800, v76
	ds_write2_b64 v75, v[77:78], v[81:82] offset1:72
	v_add_f32_e32 v77, v145, v161
	v_add_f32_e32 v78, v161, v165
	ds_write_b64 v75, v[79:80] offset:1152
	v_sub_f32_e32 v75, v161, v165
	v_add_f32_e32 v79, v144, v160
	v_add_f32_e32 v147, v77, v165
	;; [unrolled: 1-line block ×3, first 2 shown]
	v_fmac_f32_e32 v145, -0.5, v78
	buffer_store_dword v76, off, s[20:23], 0 offset:292 ; 4-byte Folded Spill
	v_add_f32_e32 v146, v79, v164
	v_fma_f32 v144, -0.5, v77, v144
	v_sub_f32_e32 v77, v160, v164
                                        ; implicit-def: $vgpr160
                                        ; implicit-def: $vgpr164
	v_fmamk_f32 v148, v75, 0x3f5db3d7, v144
	v_fmac_f32_e32 v144, 0xbf5db3d7, v75
	v_fmamk_f32 v149, v77, 0xbf5db3d7, v145
	v_fmac_f32_e32 v145, 0x3f5db3d7, v77
	ds_write2_b64 v64, v[146:147], v[148:149] offset0:16 offset1:88
	ds_write_b64 v76, v[144:145] offset:11520
	s_waitcnt lgkmcnt(0)
	s_waitcnt_vscnt null, 0x0
	s_barrier
	buffer_gl0_inv
	ds_read_b64 v[216:217], v255 offset:11376
	ds_read2_b64 v[178:181], v72 offset0:46 offset1:136
	ds_read2_b64 v[190:193], v66 offset0:96 offset1:159
	;; [unrolled: 1-line block ×5, first 2 shown]
	ds_read2_b64 v[154:157], v255 offset1:63
	ds_read2_b64 v[150:153], v255 offset0:126 offset1:216
	ds_read2_b64 v[194:197], v170 offset0:176 offset1:239
	;; [unrolled: 1-line block ×4, first 2 shown]
	s_and_saveexec_b32 s0, vcc_lo
	s_cbranch_execz .LBB0_3
; %bb.2:
	v_add_nc_u32_e32 v64, 0x1300, v255
	ds_read2_b64 v[158:161], v64 offset0:13 offset1:229
	v_add_nc_u32_e32 v64, 0x500, v255
	ds_read2_b64 v[162:165], v65 offset0:29 offset1:245
	ds_read_b64 v[218:219], v255 offset:11880
	ds_read2_b64 v[146:149], v64 offset0:29 offset1:245
	s_waitcnt lgkmcnt(3)
	v_mov_b32_e32 v144, v158
	v_mov_b32_e32 v145, v159
.LBB0_3:
	s_or_b32 exec_lo, exec_lo, s0
	v_mad_u64_u32 v[80:81], null, v199, 48, s[14:15]
	v_subrev_nc_u32_e32 v131, 27, v199
	v_cndmask_b32_e32 v130, v131, v130, vcc_lo
	v_add_co_u32 v72, s0, 0x1000, v80
	v_add_co_ci_u32_e64 v73, s0, 0, v81, s0
	s_clause 0x2
	global_load_dwordx4 v[64:67], v[80:81], off offset:1712
	global_load_dwordx4 v[116:119], v[80:81], off offset:1728
	;; [unrolled: 1-line block ×3, first 2 shown]
	v_add_co_u32 v72, s0, 0x1280, v80
	v_add_co_ci_u32_e64 v73, s0, 0, v81, s0
	s_clause 0x2
	global_load_dwordx4 v[88:91], v[72:73], off offset:16
	global_load_dwordx4 v[112:115], v[80:81], off offset:1744
	global_load_dwordx4 v[76:79], v[72:73], off offset:32
	v_add_co_u32 v72, s0, 0x1800, v80
	v_add_co_ci_u32_e64 v73, s0, 0, v81, s0
	v_add_co_u32 v128, s0, 0x1e50, v80
	v_add_co_ci_u32_e64 v129, s0, 0, v81, s0
	s_clause 0x2
	global_load_dwordx4 v[72:75], v[72:73], off offset:1616
	global_load_dwordx4 v[80:83], v[128:129], off offset:16
	;; [unrolled: 1-line block ×3, first 2 shown]
	v_mul_i32_i24_e32 v128, 48, v130
	v_mul_hi_i32_i24_e32 v129, 48, v130
	v_add_co_u32 v136, s0, s14, v128
	v_add_co_ci_u32_e64 v137, s0, s15, v129, s0
	s_clause 0x2
	global_load_dwordx4 v[128:131], v[136:137], off offset:1712
	global_load_dwordx4 v[132:135], v[136:137], off offset:1728
	;; [unrolled: 1-line block ×3, first 2 shown]
	s_waitcnt vmcnt(11) lgkmcnt(2)
	v_mul_f32_e32 v158, v195, v67
	v_mul_f32_e32 v159, v194, v67
	s_waitcnt vmcnt(9)
	v_mul_f32_e32 v235, v197, v99
	v_mul_f32_e32 v236, v196, v99
	v_mul_f32_e32 v231, v191, v119
	v_fma_f32 v158, v194, v66, -v158
	v_mul_f32_e32 v232, v190, v119
	v_fma_f32 v194, v196, v98, -v235
	v_fmac_f32_e32 v236, v197, v98
	s_waitcnt vmcnt(8)
	v_mul_f32_e32 v196, v193, v91
	v_mul_f32_e32 v197, v192, v91
	v_fma_f32 v190, v190, v118, -v231
	s_waitcnt vmcnt(6)
	v_mul_f32_e32 v231, v188, v79
	v_mul_f32_e32 v234, v180, v117
	v_fma_f32 v192, v192, v90, -v196
	v_fmac_f32_e32 v197, v193, v90
	v_mul_f32_e32 v193, v186, v115
	v_mul_f32_e32 v196, v189, v79
	v_fmac_f32_e32 v232, v191, v118
	v_mul_f32_e32 v191, v187, v115
	v_fmac_f32_e32 v231, v189, v78
	v_fmac_f32_e32 v193, v187, v114
	v_fma_f32 v187, v188, v78, -v196
	s_waitcnt lgkmcnt(1)
	v_mul_f32_e32 v188, v182, v97
	s_waitcnt vmcnt(5)
	v_mul_f32_e32 v189, v185, v73
	v_mul_f32_e32 v233, v181, v117
	;; [unrolled: 1-line block ×3, first 2 shown]
	v_fma_f32 v186, v186, v114, -v191
	v_mul_f32_e32 v191, v184, v73
	v_fmac_f32_e32 v234, v181, v116
	v_mul_f32_e32 v181, v179, v75
	v_fmac_f32_e32 v188, v183, v96
	v_fma_f32 v183, v184, v72, -v189
	v_mul_f32_e32 v184, v178, v75
	v_mul_f32_e32 v237, v153, v65
	v_fmac_f32_e32 v159, v195, v66
	v_mul_f32_e32 v195, v152, v65
	v_fma_f32 v180, v180, v116, -v233
	v_fmac_f32_e32 v191, v185, v72
	v_mul_f32_e32 v185, v175, v89
	v_mul_f32_e32 v189, v174, v89
	s_waitcnt vmcnt(4)
	v_mul_f32_e32 v196, v177, v81
	v_fma_f32 v178, v178, v74, -v181
	v_fmac_f32_e32 v184, v179, v74
	v_mul_f32_e32 v179, v176, v81
	v_mul_f32_e32 v181, v169, v113
	;; [unrolled: 1-line block ×3, first 2 shown]
	v_fma_f32 v182, v182, v96, -v235
	v_mul_f32_e32 v235, v167, v83
	v_fma_f32 v174, v174, v88, -v185
	v_fmac_f32_e32 v189, v175, v88
	v_fma_f32 v175, v176, v80, -v196
	v_fmac_f32_e32 v179, v177, v80
	s_waitcnt lgkmcnt(0)
	v_mul_f32_e32 v177, v171, v77
	v_mul_f32_e32 v185, v170, v77
	s_waitcnt vmcnt(3)
	v_mul_f32_e32 v196, v173, v141
	v_fma_f32 v168, v168, v112, -v181
	v_fmac_f32_e32 v233, v169, v112
	v_fma_f32 v169, v152, v64, -v237
	v_fmac_f32_e32 v195, v153, v64
	s_waitcnt vmcnt(2)
	v_mul_f32_e32 v152, v145, v131
	s_waitcnt vmcnt(1)
	v_mul_f32_e32 v153, v161, v133
	v_mul_f32_e32 v176, v166, v83
	v_fma_f32 v166, v166, v82, -v235
	v_fma_f32 v170, v170, v76, -v177
	v_fmac_f32_e32 v185, v171, v76
	v_fma_f32 v171, v172, v140, -v196
	v_mul_f32_e32 v177, v144, v131
	v_mul_f32_e32 v181, v160, v133
	;; [unrolled: 1-line block ×3, first 2 shown]
	v_fma_f32 v235, v144, v130, -v152
	s_waitcnt vmcnt(0)
	v_mul_f32_e32 v144, v165, v137
	v_add_f32_e32 v239, v169, v186
	v_fma_f32 v240, v160, v132, -v153
	v_add_f32_e32 v160, v158, v168
	v_fmac_f32_e32 v176, v167, v82
	v_mul_f32_e32 v167, v172, v141
	v_add_f32_e32 v172, v180, v190
	v_mul_f32_e32 v237, v162, v135
	v_add_f32_e32 v242, v182, v187
	v_fma_f32 v196, v162, v134, -v196
	v_fma_f32 v243, v164, v136, -v144
	v_add_f32_e32 v144, v160, v239
	v_add_f32_e32 v162, v194, v170
	v_mul_f32_e32 v238, v164, v137
	v_fmac_f32_e32 v181, v161, v132
	v_add_f32_e32 v161, v195, v193
	v_add_f32_e32 v241, v159, v233
	v_fmac_f32_e32 v237, v163, v134
	v_add_f32_e32 v163, v174, v192
	v_add_f32_e32 v164, v172, v144
	;; [unrolled: 1-line block ×5, first 2 shown]
	v_fmac_f32_e32 v167, v173, v140
	v_add_f32_e32 v173, v234, v232
	v_fmac_f32_e32 v177, v145, v130
	v_add_f32_e32 v145, v241, v161
	v_add_f32_e32 v244, v163, v144
	;; [unrolled: 1-line block ×4, first 2 shown]
	v_fmac_f32_e32 v238, v165, v136
	v_add_f32_e32 v165, v173, v145
	v_add_f32_e32 v152, v154, v164
	;; [unrolled: 1-line block ×4, first 2 shown]
	v_mul_f32_e32 v144, v217, v143
	v_add_f32_e32 v153, v155, v165
	v_add_f32_e32 v222, v175, v166
	;; [unrolled: 1-line block ×4, first 2 shown]
	v_fma_f32 v156, v216, v142, -v144
	v_mul_f32_e32 v157, v216, v143
	v_add_f32_e32 v226, v179, v176
	v_mul_f32_e32 v229, v148, v129
	v_add_f32_e32 v247, v235, v243
	v_add_f32_e32 v216, v183, v156
	v_fmac_f32_e32 v157, v217, v142
	v_add_f32_e32 v217, v178, v171
	v_fmac_f32_e32 v229, v149, v128
	v_add_f32_e32 v248, v240, v196
	v_add_f32_e32 v253, v177, v238
	;; [unrolled: 1-line block ×5, first 2 shown]
	v_sub_f32_e32 v158, v158, v168
	v_sub_f32_e32 v159, v159, v233
	;; [unrolled: 1-line block ×3, first 2 shown]
	v_add_f32_e32 v223, v222, v144
	v_add_f32_e32 v144, v225, v224
	v_sub_f32_e32 v168, v182, v187
	v_sub_f32_e32 v170, v194, v170
	;; [unrolled: 1-line block ×4, first 2 shown]
	v_add_f32_e32 v227, v226, v144
	v_mul_f32_e32 v144, v219, v139
	v_sub_f32_e32 v183, v183, v156
	v_sub_f32_e32 v189, v174, v170
	v_sub_f32_e32 v156, v160, v239
	v_sub_f32_e32 v184, v184, v167
	v_fma_f32 v228, v218, v138, -v144
	v_mul_f32_e32 v218, v218, v139
	v_mul_f32_e32 v144, v149, v129
	v_sub_f32_e32 v149, v195, v193
	v_sub_f32_e32 v167, v173, v241
	;; [unrolled: 1-line block ×3, first 2 shown]
	v_fmac_f32_e32 v218, v219, v138
	v_fma_f32 v219, v148, v128, -v144
	v_sub_f32_e32 v148, v169, v186
	v_sub_f32_e32 v169, v188, v231
	;; [unrolled: 1-line block ×3, first 2 shown]
	v_add_f32_e32 v252, v229, v218
	v_add_f32_e32 v220, v219, v228
	v_sub_f32_e32 v166, v241, v161
	v_sub_f32_e32 v161, v161, v173
	;; [unrolled: 1-line block ×4, first 2 shown]
	v_add_f32_e32 v144, v247, v220
	v_sub_f32_e32 v163, v242, v163
	v_sub_f32_e32 v173, v230, v246
	;; [unrolled: 1-line block ×3, first 2 shown]
	v_add_f32_e32 v150, v150, v223
	v_add_f32_e32 v251, v248, v144
	;; [unrolled: 1-line block ×3, first 2 shown]
	v_mul_f32_e32 v163, 0x3f4a47b2, v163
	v_add_f32_e32 v151, v151, v227
	v_sub_f32_e32 v193, v222, v217
	v_add_f32_e32 v198, v254, v144
	v_add_f32_e32 v144, v146, v251
	v_sub_f32_e32 v146, v190, v180
	v_sub_f32_e32 v180, v236, v185
	v_sub_f32_e32 v185, v191, v157
	v_add_f32_e32 v145, v147, v198
	v_sub_f32_e32 v147, v232, v234
	v_add_f32_e32 v179, v146, v158
	v_sub_f32_e32 v187, v146, v158
	v_sub_f32_e32 v158, v158, v148
	v_sub_f32_e32 v146, v148, v146
	v_sub_f32_e32 v188, v147, v159
	v_add_f32_e32 v148, v179, v148
	v_add_f32_e32 v179, v147, v159
	v_sub_f32_e32 v159, v159, v149
	v_sub_f32_e32 v147, v149, v147
	v_sub_f32_e32 v190, v182, v180
	v_sub_f32_e32 v157, v172, v160
	v_add_f32_e32 v149, v179, v149
	;; [unrolled: 6-line block ×3, first 2 shown]
	v_add_f32_e32 v179, v182, v180
	v_sub_f32_e32 v180, v180, v169
	v_sub_f32_e32 v182, v169, v182
	v_add_f32_e32 v169, v179, v169
	v_mul_f32_e32 v179, 0xbf08b237, v187
	v_mul_f32_e32 v187, 0x3f5ff5aa, v158
	v_fma_f32 v158, 0x3f5ff5aa, v158, -v179
	v_fma_f32 v187, 0xbeae86e6, v146, -v187
	v_fmamk_f32 v179, v146, 0x3eae86e6, v179
	v_mul_f32_e32 v146, 0xbf08b237, v188
	v_mul_f32_e32 v188, 0x3f5ff5aa, v159
	v_fmac_f32_e32 v158, 0x3ee1c552, v148
	v_fmac_f32_e32 v187, 0x3ee1c552, v148
	v_fmac_f32_e32 v179, 0x3ee1c552, v148
	v_fma_f32 v159, 0x3f5ff5aa, v159, -v146
	v_fma_f32 v188, 0xbeae86e6, v147, -v188
	v_fmamk_f32 v191, v147, 0x3eae86e6, v146
	v_mul_f32_e32 v146, 0x3f4a47b2, v160
	v_mul_f32_e32 v147, 0x3d64c772, v157
	;; [unrolled: 1-line block ×3, first 2 shown]
	v_fmamk_f32 v148, v164, 0xbf955555, v152
	v_fmac_f32_e32 v159, 0x3ee1c552, v149
	v_fmac_f32_e32 v188, 0x3ee1c552, v149
	v_fma_f32 v147, 0x3f3bfb3b, v156, -v147
	v_fma_f32 v156, 0xbf3bfb3b, v156, -v146
	v_fmamk_f32 v146, v157, 0x3d64c772, v146
	v_mul_f32_e32 v157, 0x3f4a47b2, v161
	v_fma_f32 v160, 0x3f3bfb3b, v166, -v160
	v_fmac_f32_e32 v191, 0x3ee1c552, v149
	v_add_f32_e32 v149, v147, v148
	v_add_f32_e32 v164, v156, v148
	v_fma_f32 v161, 0xbf3bfb3b, v166, -v157
	v_fmamk_f32 v157, v167, 0x3d64c772, v157
	v_mul_f32_e32 v166, 0xbf08b237, v189
	v_mul_f32_e32 v167, 0x3f5ff5aa, v170
	v_fmamk_f32 v147, v244, 0xbf955555, v154
	v_fma_f32 v170, 0x3f5ff5aa, v170, -v166
	v_fma_f32 v189, 0xbeae86e6, v174, -v167
	v_fmamk_f32 v192, v174, 0x3eae86e6, v166
	v_mul_f32_e32 v166, 0xbf08b237, v190
	v_mul_f32_e32 v167, 0x3f5ff5aa, v180
	v_fmac_f32_e32 v170, 0x3ee1c552, v168
	v_fmac_f32_e32 v189, 0x3ee1c552, v168
	;; [unrolled: 1-line block ×3, first 2 shown]
	v_fma_f32 v174, 0x3f5ff5aa, v180, -v166
	v_fma_f32 v180, 0xbeae86e6, v182, -v167
	v_fmamk_f32 v182, v182, 0x3eae86e6, v166
	v_mul_f32_e32 v166, 0x3d64c772, v162
	v_fma_f32 v167, 0xbf3bfb3b, v171, -v163
	v_fmamk_f32 v162, v162, 0x3d64c772, v163
	v_mul_f32_e32 v163, 0x3f4a47b2, v175
	v_add_f32_e32 v168, v146, v148
	v_fma_f32 v166, 0x3f3bfb3b, v171, -v166
	v_mul_f32_e32 v171, 0x3d64c772, v173
	v_fmamk_f32 v146, v165, 0xbf955555, v153
	v_fmamk_f32 v148, v221, 0xbf955555, v155
	v_fmac_f32_e32 v174, 0x3ee1c552, v169
	v_fmac_f32_e32 v180, 0x3ee1c552, v169
	v_fma_f32 v171, 0x3f3bfb3b, v172, -v171
	v_fma_f32 v172, 0xbf3bfb3b, v172, -v163
	v_fmamk_f32 v163, v173, 0x3d64c772, v163
	v_fmac_f32_e32 v182, 0x3ee1c552, v169
	v_add_f32_e32 v156, v160, v146
	v_add_f32_e32 v160, v161, v146
	;; [unrolled: 1-line block ×9, first 2 shown]
	v_sub_f32_e32 v146, v149, v159
	v_add_f32_e32 v147, v158, v156
	v_add_f32_e32 v148, v159, v149
	v_sub_f32_e32 v149, v156, v158
	v_add_f32_e32 v156, v188, v164
	v_sub_f32_e32 v157, v160, v187
	v_sub_f32_e32 v158, v164, v188
	v_add_f32_e32 v159, v187, v160
	v_add_f32_e32 v160, v191, v168
	v_sub_f32_e32 v161, v165, v179
	v_sub_f32_e32 v162, v168, v191
	v_add_f32_e32 v163, v179, v165
	v_sub_f32_e32 v164, v166, v174
	v_add_f32_e32 v165, v170, v169
	v_add_f32_e32 v166, v174, v166
	v_sub_f32_e32 v167, v169, v170
	v_add_f32_e32 v168, v180, v171
	v_sub_f32_e32 v169, v172, v189
	v_sub_f32_e32 v170, v171, v180
	v_add_f32_e32 v171, v189, v172
	v_add_f32_e32 v172, v182, v175
	v_sub_f32_e32 v174, v175, v182
	v_add_f32_e32 v182, v186, v178
	v_sub_f32_e32 v190, v216, v222
	v_sub_f32_e32 v179, v224, v226
	;; [unrolled: 1-line block ×5, first 2 shown]
	v_add_f32_e32 v182, v182, v183
	v_sub_f32_e32 v183, v176, v184
	v_sub_f32_e32 v180, v226, v225
	v_add_f32_e32 v191, v176, v184
	v_sub_f32_e32 v176, v185, v176
	v_sub_f32_e32 v184, v184, v185
	v_mul_f32_e32 v188, 0xbf08b237, v188
	v_mul_f32_e32 v190, 0x3f4a47b2, v190
	;; [unrolled: 1-line block ×4, first 2 shown]
	v_sub_f32_e32 v173, v194, v192
	v_add_f32_e32 v175, v192, v194
	v_add_f32_e32 v185, v191, v185
	v_mul_f32_e32 v191, 0x3d64c772, v193
	ds_write_b64 v255, v[160:161] offset:1728
	v_mul_f32_e32 v160, 0x3d64c772, v180
	v_mul_f32_e32 v161, 0x3f5ff5aa, v178
	ds_write_b64 v255, v[156:157] offset:3456
	v_mul_f32_e32 v156, 0x3f5ff5aa, v184
	v_fmamk_f32 v157, v186, 0x3eae86e6, v188
	v_fma_f32 v178, 0x3f5ff5aa, v178, -v188
	v_fmamk_f32 v188, v176, 0x3eae86e6, v183
	v_fmamk_f32 v192, v193, 0x3d64c772, v190
	;; [unrolled: 1-line block ×3, first 2 shown]
	v_fma_f32 v183, 0x3f5ff5aa, v184, -v183
	v_fmamk_f32 v184, v223, 0xbf955555, v150
	v_fmamk_f32 v193, v227, 0xbf955555, v151
	v_sub_f32_e32 v187, v217, v216
	v_fmac_f32_e32 v157, 0x3ee1c552, v182
	v_fmac_f32_e32 v188, 0x3ee1c552, v185
	v_add_f32_e32 v192, v192, v184
	v_add_f32_e32 v180, v180, v193
	v_sub_f32_e32 v189, v225, v224
	v_fma_f32 v191, 0x3f3bfb3b, v187, -v191
	ds_write_b64 v255, v[146:147] offset:5184
	v_add_f32_e32 v146, v188, v192
	v_sub_f32_e32 v147, v180, v157
	ds_write_b64 v255, v[148:149] offset:6912
	ds_write_b64 v255, v[158:159] offset:8640
	ds_write_b64 v255, v[162:163] offset:10368
	ds_write2_b64 v255, v[152:153], v[154:155] offset1:63
	ds_write_b64 v255, v[150:151] offset:1008
	ds_write_b64 v255, v[168:169] offset:3960
	;; [unrolled: 1-line block ×6, first 2 shown]
	v_add_nc_u32_e32 v148, 0x800, v255
	v_fma_f32 v160, 0x3f3bfb3b, v189, -v160
	v_fmac_f32_e32 v183, 0x3ee1c552, v185
	v_fma_f32 v149, 0xbeae86e6, v176, -v156
	v_fma_f32 v150, 0xbf3bfb3b, v187, -v190
	ds_write2_b64 v148, v[172:173], v[146:147] offset0:23 offset1:86
	v_add_f32_e32 v146, v191, v184
	v_fmac_f32_e32 v178, 0x3ee1c552, v182
	v_add_f32_e32 v147, v160, v193
	v_fmac_f32_e32 v149, 0x3ee1c552, v185
	v_add_f32_e32 v152, v150, v184
	v_sub_f32_e32 v166, v146, v183
	v_add_f32_e32 v168, v183, v146
	v_sub_f32_e32 v146, v235, v243
	v_sub_f32_e32 v155, v196, v240
	v_fma_f32 v148, 0xbeae86e6, v186, -v161
	v_fma_f32 v151, 0xbf3bfb3b, v189, -v179
	v_add_f32_e32 v167, v178, v147
	v_sub_f32_e32 v169, v147, v178
	v_add_f32_e32 v150, v149, v152
	v_sub_f32_e32 v170, v152, v149
	v_sub_f32_e32 v152, v219, v228
	;; [unrolled: 1-line block ×5, first 2 shown]
	v_add_f32_e32 v149, v155, v146
	v_sub_f32_e32 v162, v155, v146
	v_fmac_f32_e32 v148, 0x3ee1c552, v182
	v_add_f32_e32 v153, v151, v193
	v_sub_f32_e32 v154, v229, v218
	v_sub_f32_e32 v159, v248, v247
	;; [unrolled: 1-line block ×4, first 2 shown]
	v_add_f32_e32 v146, v156, v147
	v_add_f32_e32 v174, v149, v152
	v_mul_f32_e32 v149, 0x3d64c772, v161
	v_mul_f32_e32 v162, 0xbf08b237, v162
	v_sub_f32_e32 v151, v153, v148
	v_sub_f32_e32 v158, v247, v220
	;; [unrolled: 1-line block ×4, first 2 shown]
	v_mul_f32_e32 v147, 0x3d64c772, v159
	v_fmamk_f32 v176, v198, 0xbf955555, v145
	v_add_f32_e32 v177, v146, v154
	v_fma_f32 v146, 0x3f3bfb3b, v160, -v149
	v_fma_f32 v149, 0x3f5ff5aa, v163, -v162
	v_fmamk_f32 v175, v251, 0xbf955555, v144
	v_fma_f32 v147, 0x3f3bfb3b, v158, -v147
	v_add_f32_e32 v171, v148, v153
	v_add_f32_e32 v153, v146, v176
	v_fmac_f32_e32 v149, 0x3ee1c552, v174
	v_add_f32_e32 v173, v157, v180
	v_sub_f32_e32 v157, v220, v248
	ds_write_b64 v255, v[150:151] offset:4464
	v_sub_f32_e32 v150, v152, v155
	v_mul_f32_e32 v155, 0x3f5ff5aa, v163
	v_add_f32_e32 v148, v147, v175
	v_add_f32_e32 v147, v149, v153
	v_sub_f32_e32 v149, v153, v149
	v_mul_f32_e32 v153, 0x3f4a47b2, v157
	v_sub_f32_e32 v152, v154, v156
	v_fmamk_f32 v154, v150, 0x3eae86e6, v162
	v_fma_f32 v157, 0xbeae86e6, v150, -v155
	buffer_load_dword v150, off, s[20:23], 0 offset:484 ; 4-byte Folded Reload
	v_mul_f32_e32 v164, 0xbf08b237, v164
	v_fmamk_f32 v156, v159, 0x3d64c772, v153
	v_fma_f32 v153, 0xbf3bfb3b, v158, -v153
	v_mul_f32_e32 v158, 0x3f5ff5aa, v165
	v_fmac_f32_e32 v154, 0x3ee1c552, v174
	v_fma_f32 v178, 0x3f5ff5aa, v165, -v164
	v_fmamk_f32 v155, v152, 0x3eae86e6, v164
	v_add_f32_e32 v156, v156, v175
	v_fma_f32 v158, 0xbeae86e6, v152, -v158
	v_fmac_f32_e32 v157, 0x3ee1c552, v174
	v_fmac_f32_e32 v178, 0x3ee1c552, v177
	;; [unrolled: 1-line block ×3, first 2 shown]
	v_sub_f32_e32 v172, v192, v188
	v_fmac_f32_e32 v158, 0x3ee1c552, v177
	ds_write_b64 v255, v[166:167] offset:6192
	ds_write_b64 v255, v[168:169] offset:7920
	;; [unrolled: 1-line block ×4, first 2 shown]
	v_sub_f32_e32 v146, v148, v178
	v_add_f32_e32 v148, v178, v148
	v_sub_f32_e32 v178, v252, v254
	v_sub_f32_e32 v152, v156, v155
	v_mul_f32_e32 v151, 0x3f4a47b2, v178
	v_fmamk_f32 v159, v161, 0x3d64c772, v151
	v_fma_f32 v151, 0xbf3bfb3b, v160, -v151
	v_add_f32_e32 v160, v153, v175
	v_add_f32_e32 v159, v159, v176
	;; [unrolled: 1-line block ×5, first 2 shown]
	s_waitcnt vmcnt(0)
	v_lshlrev_b32_e32 v165, 3, v150
	v_add_nc_u32_e32 v150, 0x237, v199
	v_lshlrev_b32_e32 v164, 4, v150
	v_add_nc_u32_e32 v150, 0x276, v199
	;; [unrolled: 2-line block ×3, first 2 shown]
	v_lshlrev_b32_e32 v162, 4, v150
	v_sub_f32_e32 v150, v160, v158
	s_and_saveexec_b32 s0, vcc_lo
	s_cbranch_execz .LBB0_5
; %bb.4:
	v_sub_f32_e32 v161, v161, v157
	v_sub_f32_e32 v157, v159, v154
	v_add_f32_e32 v156, v155, v156
	v_add_nc_u32_e32 v154, 0x500, v255
	v_add_f32_e32 v160, v158, v160
	v_add_nc_u32_e32 v155, 0x1300, v255
	v_add_nc_u32_e32 v158, 0x2000, v255
	ds_write2_b64 v154, v[144:145], v[156:157] offset0:29 offset1:245
	ds_write2_b64 v155, v[160:161], v[146:147] offset0:13 offset1:229
	;; [unrolled: 1-line block ×3, first 2 shown]
	ds_write_b64 v255, v[152:153] offset:11880
.LBB0_5:
	s_or_b32 exec_lo, exec_lo, s0
	v_lshlrev_b32_e32 v144, 3, v199
	s_waitcnt lgkmcnt(0)
	s_barrier
	buffer_gl0_inv
	v_mov_b32_e32 v220, v199
	v_add_co_u32 v157, s0, s12, v144
	v_add_co_ci_u32_e64 v158, null, s13, 0, s0
	v_add_co_u32 v144, s0, 0x2800, v157
	v_add_co_ci_u32_e64 v145, s0, 0, v158, s0
	v_add_co_u32 v154, s0, 0x4000, v157
	v_add_co_ci_u32_e64 v155, s0, 0, v158, s0
	s_clause 0x3
	global_load_dwordx2 v[144:145], v[144:145], off offset:1856
	global_load_dwordx2 v[170:171], v[154:155], off offset:248
	;; [unrolled: 1-line block ×4, first 2 shown]
	ds_read2_b64 v[166:169], v255 offset1:63
	s_waitcnt vmcnt(3) lgkmcnt(0)
	v_mul_f32_e32 v156, v167, v145
	v_mul_f32_e32 v160, v166, v145
	v_fma_f32 v159, v166, v144, -v156
	v_fmac_f32_e32 v160, v167, v144
	v_add_co_u32 v144, s0, 0x2f40, v157
	v_add_co_ci_u32_e64 v145, s0, 0, v158, s0
	s_clause 0x3
	global_load_dwordx2 v[166:167], v[144:145], off offset:504
	global_load_dwordx2 v[176:177], v[144:145], off offset:1008
	;; [unrolled: 1-line block ×4, first 2 shown]
	ds_write_b64 v255, v[159:160]
	global_load_dwordx2 v[154:155], v[154:155], off offset:1760
	v_add_co_u32 v160, s0, 0x4800, v157
	v_add_co_ci_u32_e64 v161, s0, 0, v158, s0
	s_clause 0x2
	global_load_dwordx2 v[184:185], v[160:161], off offset:216
	global_load_dwordx2 v[186:187], v[160:161], off offset:720
	;; [unrolled: 1-line block ×3, first 2 shown]
	v_add_nc_u32_e32 v159, 0x400, v255
	s_waitcnt vmcnt(7)
	v_mul_f32_e32 v144, v169, v167
	v_mul_f32_e32 v183, v168, v167
	v_fma_f32 v182, v168, v166, -v144
	v_add_nc_u32_e32 v144, 0x1400, v255
	v_fmac_f32_e32 v183, v169, v166
	ds_read2_b64 v[166:169], v144 offset0:116 offset1:179
	s_waitcnt vmcnt(3) lgkmcnt(0)
	v_mul_f32_e32 v145, v167, v155
	v_mul_f32_e32 v191, v166, v155
	s_waitcnt vmcnt(2)
	v_mul_f32_e32 v193, v168, v185
	v_fma_f32 v190, v166, v154, -v145
	v_mul_f32_e32 v145, v169, v185
	v_fmac_f32_e32 v191, v167, v154
	v_fmac_f32_e32 v193, v169, v184
	v_fma_f32 v192, v168, v184, -v145
	ds_read2_b64 v[166:169], v255 offset0:126 offset1:189
	s_waitcnt lgkmcnt(0)
	v_mul_f32_e32 v145, v167, v177
	v_mul_f32_e32 v185, v166, v177
	;; [unrolled: 1-line block ×3, first 2 shown]
	v_fma_f32 v184, v166, v176, -v145
	v_mul_f32_e32 v145, v169, v179
	v_fmac_f32_e32 v185, v167, v176
	v_fmac_f32_e32 v177, v169, v178
	v_fma_f32 v176, v168, v178, -v145
	v_add_nc_u32_e32 v145, 0x1800, v255
	ds_read2_b64 v[166:169], v145 offset0:114 offset1:177
	s_waitcnt vmcnt(1) lgkmcnt(0)
	v_mul_f32_e32 v154, v167, v187
	v_mul_f32_e32 v179, v166, v187
	s_waitcnt vmcnt(0)
	v_mul_f32_e32 v187, v168, v189
	v_fma_f32 v178, v166, v186, -v154
	v_mul_f32_e32 v154, v169, v189
	v_fmac_f32_e32 v179, v167, v186
	v_fmac_f32_e32 v187, v169, v188
	v_fma_f32 v186, v168, v188, -v154
	ds_read2_b64 v[166:169], v159 offset0:124 offset1:187
	s_waitcnt lgkmcnt(0)
	v_mul_f32_e32 v154, v167, v181
	v_mul_f32_e32 v189, v166, v181
	v_fma_f32 v188, v166, v180, -v154
	v_add_co_u32 v154, s0, 0x3800, v157
	v_add_co_ci_u32_e64 v155, s0, 0, v158, s0
	v_fmac_f32_e32 v189, v167, v180
	s_clause 0x3
	global_load_dwordx2 v[180:181], v[154:155], off offset:784
	global_load_dwordx2 v[194:195], v[154:155], off offset:1288
	;; [unrolled: 1-line block ×4, first 2 shown]
	v_add_co_u32 v218, s0, 0x5000, v157
	v_add_co_ci_u32_e64 v219, s0, 0, v158, s0
	v_add_co_u32 v157, s0, 0x5800, v157
	v_add_co_ci_u32_e64 v158, s0, 0, v158, s0
	s_waitcnt vmcnt(0)
	v_mul_f32_e32 v156, v169, v167
	v_mul_f32_e32 v197, v168, v167
	v_fma_f32 v196, v168, v166, -v156
	v_add_nc_u32_e32 v156, 0x1c00, v255
	v_fmac_f32_e32 v197, v169, v166
	ds_read2_b64 v[166:169], v156 offset0:112 offset1:175
	s_waitcnt lgkmcnt(0)
	v_mul_f32_e32 v198, v167, v161
	v_mul_f32_e32 v217, v166, v161
	v_fma_f32 v216, v166, v160, -v198
	v_fmac_f32_e32 v217, v167, v160
	s_clause 0x3
	global_load_dwordx2 v[160:161], v[218:219], off offset:688
	global_load_dwordx2 v[230:231], v[218:219], off offset:1192
	;; [unrolled: 1-line block ×4, first 2 shown]
	s_waitcnt vmcnt(0)
	v_mul_f32_e32 v166, v169, v155
	v_mul_f32_e32 v235, v168, v155
	v_fma_f32 v234, v168, v154, -v166
	v_fmac_f32_e32 v235, v169, v154
	v_add_nc_u32_e32 v154, 0x800, v255
	ds_read2_b64 v[166:169], v154 offset0:122 offset1:185
	s_waitcnt lgkmcnt(0)
	v_mul_f32_e32 v155, v167, v181
	v_mul_f32_e32 v237, v166, v181
	;; [unrolled: 1-line block ×3, first 2 shown]
	v_fma_f32 v236, v166, v180, -v155
	v_mul_f32_e32 v155, v169, v195
	v_fmac_f32_e32 v237, v167, v180
	v_fmac_f32_e32 v181, v169, v194
	v_fma_f32 v180, v168, v194, -v155
	v_add_nc_u32_e32 v155, 0x2000, v255
	ds_read2_b64 v[166:169], v155 offset0:110 offset1:173
	s_waitcnt lgkmcnt(0)
	v_mul_f32_e32 v194, v167, v161
	v_mul_f32_e32 v195, v166, v161
	;; [unrolled: 1-line block ×3, first 2 shown]
	v_fma_f32 v194, v166, v160, -v194
	v_fmac_f32_e32 v195, v167, v160
	v_mul_f32_e32 v160, v169, v231
	v_fmac_f32_e32 v239, v169, v230
	v_fma_f32 v238, v168, v230, -v160
	v_add_nc_u32_e32 v160, 0xc00, v255
	ds_read2_b64 v[166:169], v160 offset0:120 offset1:183
	s_waitcnt lgkmcnt(0)
	v_mul_f32_e32 v161, v167, v233
	v_mul_f32_e32 v231, v166, v233
	;; [unrolled: 1-line block ×3, first 2 shown]
	v_fma_f32 v230, v166, v232, -v161
	v_mul_f32_e32 v161, v169, v171
	v_fmac_f32_e32 v231, v167, v232
	v_fmac_f32_e32 v233, v169, v170
	v_fma_f32 v232, v168, v170, -v161
	s_clause 0x3
	global_load_dwordx2 v[170:171], v[218:219], off offset:1696
	global_load_dwordx2 v[218:219], v[157:158], off offset:152
	global_load_dwordx2 v[240:241], v[157:158], off offset:656
	global_load_dwordx2 v[242:243], v[157:158], off offset:1160
	v_add_nc_u32_e32 v161, 0x2400, v255
	ds_read2_b64 v[166:169], v161 offset0:108 offset1:171
	s_waitcnt vmcnt(3) lgkmcnt(0)
	v_mul_f32_e32 v157, v167, v171
	v_mul_f32_e32 v245, v166, v171
	s_waitcnt vmcnt(2)
	v_mul_f32_e32 v171, v168, v219
	v_fma_f32 v244, v166, v170, -v157
	v_mul_f32_e32 v157, v169, v219
	v_fmac_f32_e32 v245, v167, v170
	v_fmac_f32_e32 v171, v169, v218
	v_fma_f32 v170, v168, v218, -v157
	v_add_nc_u32_e32 v157, 0x1000, v255
	ds_read2_b64 v[166:169], v157 offset0:118 offset1:181
	s_waitcnt lgkmcnt(0)
	v_mul_f32_e32 v158, v167, v173
	v_mul_f32_e32 v219, v166, v173
	;; [unrolled: 1-line block ×3, first 2 shown]
	v_fma_f32 v218, v166, v172, -v158
	v_mul_f32_e32 v158, v169, v175
	v_fmac_f32_e32 v219, v167, v172
	v_fmac_f32_e32 v173, v169, v174
	v_fma_f32 v172, v168, v174, -v158
	v_add_nc_u32_e32 v158, 0x2800, v255
	ds_read2_b64 v[166:169], v158 offset0:106 offset1:169
	s_waitcnt vmcnt(1) lgkmcnt(0)
	v_mul_f32_e32 v174, v167, v241
	v_mul_f32_e32 v175, v166, v241
	v_fma_f32 v174, v166, v240, -v174
	v_fmac_f32_e32 v175, v167, v240
	s_waitcnt vmcnt(0)
	v_mul_f32_e32 v166, v169, v243
	v_mul_f32_e32 v167, v168, v243
	v_fma_f32 v166, v168, v242, -v166
	v_fmac_f32_e32 v167, v169, v242
	ds_write2_b64 v255, v[182:183], v[184:185] offset0:63 offset1:126
	ds_write2_b64 v145, v[192:193], v[178:179] offset0:51 offset1:114
	;; [unrolled: 1-line block ×11, first 2 shown]
	ds_write_b64 v255, v[166:167] offset:11592
	s_waitcnt lgkmcnt(0)
	s_barrier
	buffer_gl0_inv
	ds_read2_b64 v[166:169], v255 offset1:63
	ds_read2_b64 v[170:173], v144 offset0:116 offset1:179
	ds_read2_b64 v[178:181], v255 offset0:126 offset1:189
	;; [unrolled: 1-line block ×11, first 2 shown]
	s_waitcnt lgkmcnt(0)
	s_barrier
	buffer_gl0_inv
	v_sub_f32_e32 v176, v166, v170
	v_sub_f32_e32 v177, v167, v171
	;; [unrolled: 1-line block ×4, first 2 shown]
	v_fma_f32 v174, v166, 2.0, -v176
	buffer_load_dword v166, off, s[20:23], 0 offset:200 ; 4-byte Folded Reload
	v_fma_f32 v175, v167, 2.0, -v177
	v_fma_f32 v168, v168, 2.0, -v170
	;; [unrolled: 1-line block ×3, first 2 shown]
	s_waitcnt vmcnt(0)
	ds_write_b128 v166, v[174:177]
	buffer_load_dword v166, off, s[20:23], 0 offset:480 ; 4-byte Folded Reload
	s_waitcnt vmcnt(0)
	ds_write_b128 v166, v[168:171]
	buffer_load_dword v170, off, s[20:23], 0 offset:476 ; 4-byte Folded Reload
	v_sub_f32_e32 v168, v178, v182
	v_sub_f32_e32 v169, v179, v183
	v_fma_f32 v166, v178, 2.0, -v168
	v_fma_f32 v167, v179, 2.0, -v169
	s_waitcnt vmcnt(0)
	ds_write_b128 v170, v[166:169]
	buffer_load_dword v170, off, s[20:23], 0 offset:472 ; 4-byte Folded Reload
	v_sub_f32_e32 v168, v180, v184
	v_sub_f32_e32 v169, v181, v185
	v_fma_f32 v166, v180, 2.0, -v168
	v_fma_f32 v167, v181, 2.0, -v169
	;; [unrolled: 7-line block ×6, first 2 shown]
	s_waitcnt vmcnt(0)
	ds_write_b128 v170, v[166:169]
	v_sub_f32_e32 v168, v230, v234
	v_sub_f32_e32 v169, v231, v235
	v_fma_f32 v166, v230, 2.0, -v168
	v_fma_f32 v167, v231, 2.0, -v169
	ds_write_b128 v165, v[166:169]
	v_sub_f32_e32 v167, v232, v236
	v_sub_f32_e32 v168, v233, v237
	v_fma_f32 v165, v232, 2.0, -v167
	v_fma_f32 v166, v233, 2.0, -v168
	ds_write_b128 v164, v[165:168]
	v_sub_f32_e32 v166, v238, v242
	v_sub_f32_e32 v167, v239, v243
	v_fma_f32 v164, v238, 2.0, -v166
	v_fma_f32 v165, v239, 2.0, -v167
	ds_write_b128 v163, v[164:167]
	v_sub_f32_e32 v165, v240, v244
	v_sub_f32_e32 v166, v241, v245
	v_fma_f32 v163, v240, 2.0, -v165
	v_fma_f32 v164, v241, 2.0, -v166
	ds_write_b128 v162, v[163:166]
	s_waitcnt lgkmcnt(0)
	s_barrier
	buffer_gl0_inv
	buffer_load_dword v166, off, s[20:23], 0 offset:408 ; 4-byte Folded Reload
	ds_read2_b64 v[162:165], v145 offset0:114 offset1:177
	s_waitcnt lgkmcnt(0)
	v_mul_f32_e32 v188, v215, v165
	v_mul_f32_e32 v190, v207, v163
	v_fmac_f32_e32 v188, v214, v164
	v_mul_f32_e32 v164, v215, v164
	v_fmac_f32_e32 v190, v206, v162
	v_mul_f32_e32 v162, v207, v162
	v_fma_f32 v189, v214, v165, -v164
	v_fma_f32 v191, v206, v163, -v162
	ds_read2_b64 v[162:165], v156 offset0:112 offset1:175
	s_waitcnt lgkmcnt(0)
	v_mul_f32_e32 v192, v213, v165
	v_mul_f32_e32 v194, v207, v163
	v_fmac_f32_e32 v192, v212, v164
	v_mul_f32_e32 v164, v213, v164
	v_fmac_f32_e32 v194, v206, v162
	v_mul_f32_e32 v162, v207, v162
	v_fma_f32 v193, v212, v165, -v164
	v_fma_f32 v195, v206, v163, -v162
	ds_read2_b64 v[162:165], v155 offset0:110 offset1:173
	s_waitcnt lgkmcnt(0)
	v_mul_f32_e32 v196, v211, v165
	v_mul_f32_e32 v198, v207, v163
	v_fmac_f32_e32 v196, v210, v164
	v_mul_f32_e32 v164, v211, v164
	v_fmac_f32_e32 v198, v206, v162
	v_mul_f32_e32 v162, v207, v162
	v_fma_f32 v197, v210, v165, -v164
	v_fma_f32 v199, v206, v163, -v162
	ds_read2_b64 v[162:165], v161 offset0:108 offset1:171
	s_waitcnt lgkmcnt(0)
	v_mul_f32_e32 v210, v209, v165
	v_fmac_f32_e32 v210, v208, v164
	v_mul_f32_e32 v164, v209, v164
	v_mul_f32_e32 v209, v207, v163
	v_fma_f32 v208, v208, v165, -v164
	v_fmac_f32_e32 v209, v206, v162
	v_mul_f32_e32 v162, v207, v162
	v_fma_f32 v211, v206, v163, -v162
	ds_read2_b64 v[162:165], v158 offset0:106 offset1:169
	s_waitcnt lgkmcnt(0)
	v_mul_f32_e32 v213, v207, v163
	v_fmac_f32_e32 v213, v206, v162
	v_mul_f32_e32 v162, v207, v162
	v_fma_f32 v214, v206, v163, -v162
	s_waitcnt vmcnt(0)
	v_mul_f32_e32 v212, v166, v165
	v_mul_f32_e32 v166, v166, v164
	v_fmac_f32_e32 v212, v204, v164
	v_fma_f32 v204, v204, v165, -v166
	ds_read2_b64 v[162:165], v144 offset0:116 offset1:179
	s_waitcnt lgkmcnt(0)
	v_mul_f32_e32 v166, v207, v163
	v_fmac_f32_e32 v166, v206, v162
	v_mul_f32_e32 v162, v207, v162
	v_fma_f32 v167, v206, v163, -v162
	buffer_load_dword v163, off, s[20:23], 0 offset:400 ; 4-byte Folded Reload
	v_mul_f32_e32 v206, v205, v165
	v_mul_f32_e32 v162, v205, v164
	s_waitcnt vmcnt(0)
	v_fmac_f32_e32 v206, v163, v164
	v_fma_f32 v205, v163, v165, -v162
	ds_read2_b64 v[162:165], v255 offset1:63
	s_waitcnt lgkmcnt(0)
	v_sub_f32_e32 v186, v162, v166
	v_sub_f32_e32 v187, v163, v167
	ds_read2_b64 v[166:169], v255 offset0:126 offset1:189
	ds_read2_b64 v[170:173], v159 offset0:124 offset1:187
	;; [unrolled: 1-line block ×5, first 2 shown]
	s_waitcnt lgkmcnt(0)
	s_barrier
	buffer_gl0_inv
	buffer_load_dword v207, off, s[20:23], 0 offset:452 ; 4-byte Folded Reload
	v_fma_f32 v162, v162, 2.0, -v186
	v_fma_f32 v163, v163, 2.0, -v187
	s_waitcnt vmcnt(0)
	ds_write2_b64 v207, v[162:163], v[186:187] offset1:2
	buffer_load_dword v186, off, s[20:23], 0 offset:448 ; 4-byte Folded Reload
	v_sub_f32_e32 v162, v164, v206
	v_sub_f32_e32 v163, v165, v205
	v_fma_f32 v164, v164, 2.0, -v162
	v_fma_f32 v165, v165, 2.0, -v163
	s_waitcnt vmcnt(0)
	ds_write2_b64 v186, v[164:165], v[162:163] offset1:2
	v_sub_f32_e32 v162, v166, v190
	v_sub_f32_e32 v163, v167, v191
	v_fma_f32 v164, v166, 2.0, -v162
	buffer_load_dword v166, off, s[20:23], 0 offset:444 ; 4-byte Folded Reload
	v_fma_f32 v165, v167, 2.0, -v163
	s_waitcnt vmcnt(0)
	ds_write2_b64 v166, v[164:165], v[162:163] offset1:2
	buffer_load_dword v166, off, s[20:23], 0 offset:440 ; 4-byte Folded Reload
	v_sub_f32_e32 v162, v168, v188
	v_sub_f32_e32 v163, v169, v189
	v_fma_f32 v164, v168, 2.0, -v162
	v_fma_f32 v165, v169, 2.0, -v163
	s_waitcnt vmcnt(0)
	ds_write2_b64 v166, v[164:165], v[162:163] offset1:2
	buffer_load_dword v166, off, s[20:23], 0 offset:436 ; 4-byte Folded Reload
	v_sub_f32_e32 v162, v170, v194
	v_sub_f32_e32 v163, v171, v195
	v_fma_f32 v164, v170, 2.0, -v162
	;; [unrolled: 7-line block ×9, first 2 shown]
	v_fma_f32 v165, v185, 2.0, -v163
	s_waitcnt vmcnt(0)
	ds_write2_b64 v166, v[164:165], v[162:163] offset1:2
	s_waitcnt lgkmcnt(0)
	s_barrier
	buffer_gl0_inv
	ds_read2_b64 v[162:165], v155 offset0:110 offset1:173
	s_clause 0x1
	buffer_load_dword v166, off, s[20:23], 0 offset:392
	buffer_load_dword v167, off, s[20:23], 0 offset:396
	s_waitcnt lgkmcnt(0)
	v_mul_f32_e32 v190, v203, v165
	v_fmac_f32_e32 v190, v202, v164
	s_waitcnt vmcnt(0)
	v_mul_f32_e32 v188, v167, v163
	v_fmac_f32_e32 v188, v166, v162
	v_mul_f32_e32 v162, v167, v162
	v_fma_f32 v189, v166, v163, -v162
	v_mul_f32_e32 v162, v203, v164
	buffer_load_dword v166, off, s[20:23], 0 offset:356 ; 4-byte Folded Reload
	v_fma_f32 v191, v202, v165, -v162
	ds_read2_b64 v[162:165], v156 offset0:112 offset1:175
	s_waitcnt lgkmcnt(0)
	v_mul_f32_e32 v192, v201, v165
	v_mul_f32_e32 v194, v250, v163
	v_fmac_f32_e32 v192, v200, v164
	v_mul_f32_e32 v164, v201, v164
	v_fmac_f32_e32 v194, v249, v162
	v_mul_f32_e32 v162, v250, v162
	v_fma_f32 v193, v200, v165, -v164
	v_fma_f32 v195, v249, v163, -v162
	ds_read2_b64 v[162:165], v161 offset0:108 offset1:171
	s_clause 0x2
	buffer_load_dword v167, off, s[20:23], 0 offset:332
	buffer_load_dword v168, off, s[20:23], 0 offset:336
	;; [unrolled: 1-line block ×3, first 2 shown]
	s_waitcnt lgkmcnt(0)
	v_mul_f32_e32 v197, v250, v163
	v_fmac_f32_e32 v197, v249, v162
	v_mul_f32_e32 v162, v250, v162
	v_fma_f32 v198, v249, v163, -v162
	s_waitcnt vmcnt(3)
	v_mul_f32_e32 v196, v166, v165
	v_mul_f32_e32 v166, v166, v164
	s_waitcnt vmcnt(2)
	v_fmac_f32_e32 v196, v167, v164
	v_fma_f32 v199, v167, v165, -v166
	ds_read2_b64 v[162:165], v144 offset0:116 offset1:179
	s_waitcnt lgkmcnt(0)
	v_mul_f32_e32 v166, v250, v163
	s_waitcnt vmcnt(1)
	v_mul_f32_e32 v200, v168, v165
	v_fmac_f32_e32 v166, v249, v162
	v_mul_f32_e32 v162, v250, v162
	v_fma_f32 v167, v249, v163, -v162
	buffer_load_dword v163, off, s[20:23], 0 offset:316 ; 4-byte Folded Reload
	v_mul_f32_e32 v162, v168, v164
	buffer_load_dword v168, off, s[20:23], 0 offset:360 ; 4-byte Folded Reload
	s_waitcnt vmcnt(1)
	v_fmac_f32_e32 v200, v163, v164
	v_fma_f32 v201, v163, v165, -v162
	ds_read2_b64 v[162:165], v158 offset0:106 offset1:169
	s_clause 0x3
	buffer_load_dword v170, off, s[20:23], 0 offset:344
	buffer_load_dword v171, off, s[20:23], 0 offset:348
	;; [unrolled: 1-line block ×4, first 2 shown]
	s_waitcnt vmcnt(4) lgkmcnt(0)
	v_mul_f32_e32 v202, v168, v163
	v_mul_f32_e32 v168, v168, v162
	v_mul_f32_e32 v203, v169, v165
	v_mul_f32_e32 v169, v169, v164
	s_waitcnt vmcnt(3)
	v_fmac_f32_e32 v202, v170, v162
	v_fma_f32 v204, v170, v163, -v168
	buffer_load_dword v170, off, s[20:23], 0 offset:320 ; 4-byte Folded Reload
	s_waitcnt vmcnt(2)
	v_fmac_f32_e32 v203, v172, v164
	v_fma_f32 v205, v172, v165, -v169
	ds_read2_b64 v[162:165], v145 offset0:114 offset1:177
	s_waitcnt lgkmcnt(0)
	v_mul_f32_e32 v206, v171, v163
	v_mul_f32_e32 v168, v171, v162
	s_waitcnt vmcnt(1)
	v_mul_f32_e32 v207, v173, v165
	v_mul_f32_e32 v169, v173, v164
	s_waitcnt vmcnt(0)
	v_fmac_f32_e32 v206, v170, v162
	buffer_load_dword v162, off, s[20:23], 0 offset:324 ; 4-byte Folded Reload
	v_fma_f32 v208, v170, v163, -v168
	s_waitcnt vmcnt(0)
	v_fmac_f32_e32 v207, v162, v164
	v_fma_f32 v209, v162, v165, -v169
	ds_read2_b64 v[162:165], v255 offset1:63
	s_waitcnt lgkmcnt(0)
	v_sub_f32_e32 v186, v162, v166
	v_sub_f32_e32 v187, v163, v167
	ds_read2_b64 v[166:169], v255 offset0:126 offset1:189
	ds_read2_b64 v[170:173], v159 offset0:124 offset1:187
	;; [unrolled: 1-line block ×5, first 2 shown]
	s_waitcnt lgkmcnt(0)
	s_barrier
	buffer_gl0_inv
	buffer_load_dword v210, off, s[20:23], 0 offset:388 ; 4-byte Folded Reload
	v_fma_f32 v162, v162, 2.0, -v186
	v_fma_f32 v163, v163, 2.0, -v187
	s_waitcnt vmcnt(0)
	ds_write2_b64 v210, v[162:163], v[186:187] offset1:4
	buffer_load_dword v186, off, s[20:23], 0 offset:384 ; 4-byte Folded Reload
	v_sub_f32_e32 v162, v164, v200
	v_sub_f32_e32 v163, v165, v201
	v_fma_f32 v164, v164, 2.0, -v162
	v_fma_f32 v165, v165, 2.0, -v163
	s_waitcnt vmcnt(0)
	ds_write2_b64 v186, v[164:165], v[162:163] offset1:4
	v_sub_f32_e32 v162, v166, v206
	v_sub_f32_e32 v163, v167, v208
	v_fma_f32 v164, v166, 2.0, -v162
	buffer_load_dword v166, off, s[20:23], 0 offset:376 ; 4-byte Folded Reload
	v_fma_f32 v165, v167, 2.0, -v163
	s_waitcnt vmcnt(0)
	ds_write2_b64 v166, v[164:165], v[162:163] offset1:4
	buffer_load_dword v166, off, s[20:23], 0 offset:372 ; 4-byte Folded Reload
	v_sub_f32_e32 v162, v168, v207
	v_sub_f32_e32 v163, v169, v209
	v_fma_f32 v164, v168, 2.0, -v162
	v_fma_f32 v165, v169, 2.0, -v163
	s_waitcnt vmcnt(0)
	ds_write2_b64 v166, v[164:165], v[162:163] offset1:4
	buffer_load_dword v166, off, s[20:23], 0 offset:352 ; 4-byte Folded Reload
	v_sub_f32_e32 v162, v170, v194
	v_sub_f32_e32 v163, v171, v195
	v_fma_f32 v164, v170, 2.0, -v162
	;; [unrolled: 7-line block ×9, first 2 shown]
	v_fma_f32 v165, v185, 2.0, -v163
	s_waitcnt vmcnt(0)
	ds_write2_b64 v166, v[164:165], v[162:163] offset1:4
	s_waitcnt lgkmcnt(0)
	s_barrier
	buffer_gl0_inv
	ds_read2_b64 v[162:165], v160 offset0:120 offset1:183
	ds_read2_b64 v[166:169], v156 offset0:112 offset1:175
	s_waitcnt lgkmcnt(1)
	v_mul_f32_e32 v170, v125, v163
	v_mul_f32_e32 v125, v125, v162
	v_fmac_f32_e32 v170, v124, v162
	v_fma_f32 v162, v124, v163, -v125
	s_waitcnt lgkmcnt(0)
	v_mul_f32_e32 v163, v127, v167
	v_mul_f32_e32 v124, v127, v166
	v_fmac_f32_e32 v163, v126, v166
	v_fma_f32 v166, v126, v167, -v124
	v_mul_f32_e32 v167, v109, v165
	v_mul_f32_e32 v109, v109, v164
	ds_read2_b64 v[124:127], v155 offset0:110 offset1:173
	v_fmac_f32_e32 v167, v108, v164
	v_fma_f32 v164, v108, v165, -v109
	v_mul_f32_e32 v165, v111, v169
	v_mul_f32_e32 v108, v111, v168
	v_fmac_f32_e32 v165, v110, v168
	v_fma_f32 v168, v110, v169, -v108
	ds_read2_b64 v[108:111], v157 offset0:118 offset1:181
	s_waitcnt lgkmcnt(0)
	v_mul_f32_e32 v169, v121, v109
	v_fmac_f32_e32 v169, v120, v108
	v_mul_f32_e32 v108, v121, v108
	v_mul_f32_e32 v121, v123, v125
	v_fma_f32 v120, v120, v109, -v108
	v_mul_f32_e32 v108, v123, v124
	v_mul_f32_e32 v123, v101, v111
	;; [unrolled: 1-line block ×3, first 2 shown]
	v_fmac_f32_e32 v121, v122, v124
	v_fma_f32 v122, v122, v125, -v108
	v_fmac_f32_e32 v123, v100, v110
	v_fma_f32 v124, v100, v111, -v101
	v_mul_f32_e32 v125, v103, v127
	v_mul_f32_e32 v100, v103, v126
	ds_read2_b64 v[108:111], v161 offset0:108 offset1:171
	v_fmac_f32_e32 v125, v102, v126
	v_fma_f32 v126, v102, v127, -v100
	ds_read2_b64 v[100:103], v144 offset0:116 offset1:179
	s_waitcnt lgkmcnt(1)
	v_mul_f32_e32 v172, v107, v109
	v_mul_f32_e32 v174, v87, v111
	s_waitcnt lgkmcnt(0)
	v_mul_f32_e32 v127, v105, v101
	v_fmac_f32_e32 v172, v106, v108
	v_fmac_f32_e32 v174, v86, v110
	;; [unrolled: 1-line block ×3, first 2 shown]
	v_mul_f32_e32 v100, v105, v100
	v_fma_f32 v171, v104, v101, -v100
	v_mul_f32_e32 v100, v107, v108
	v_fma_f32 v108, v106, v109, -v100
	v_mul_f32_e32 v109, v85, v103
	v_mul_f32_e32 v85, v85, v102
	v_fmac_f32_e32 v109, v84, v102
	v_fma_f32 v173, v84, v103, -v85
	v_mul_f32_e32 v84, v87, v110
	ds_read2_b64 v[100:103], v158 offset0:106 offset1:169
	v_fma_f32 v110, v86, v111, -v84
	ds_read2_b64 v[84:87], v145 offset0:114 offset1:177
	s_waitcnt lgkmcnt(1)
	v_mul_f32_e32 v180, v71, v103
	v_mul_f32_e32 v176, v95, v101
	s_waitcnt lgkmcnt(0)
	v_mul_f32_e32 v178, v69, v87
	v_mul_f32_e32 v69, v69, v86
	v_fmac_f32_e32 v180, v70, v102
	v_mul_f32_e32 v111, v93, v85
	v_fmac_f32_e32 v176, v94, v100
	v_fmac_f32_e32 v178, v68, v86
	v_fma_f32 v179, v68, v87, -v69
	v_mul_f32_e32 v68, v71, v102
	v_fmac_f32_e32 v111, v92, v84
	v_mul_f32_e32 v84, v93, v84
	v_fma_f32 v181, v70, v103, -v68
	ds_read2_b64 v[68:71], v255 offset1:63
	v_fma_f32 v175, v92, v85, -v84
	v_mul_f32_e32 v84, v95, v100
	v_add_f32_e32 v85, v162, v166
	v_fma_f32 v177, v94, v101, -v84
	s_waitcnt lgkmcnt(0)
	v_add_f32_e32 v84, v69, v162
	v_sub_f32_e32 v162, v162, v166
	v_fma_f32 v69, -0.5, v85, v69
	v_add_f32_e32 v105, v84, v166
	v_add_f32_e32 v84, v68, v170
	;; [unrolled: 1-line block ×4, first 2 shown]
	v_sub_f32_e32 v163, v170, v163
	v_fma_f32 v68, -0.5, v84, v68
	ds_read2_b64 v[84:87], v255 offset0:126 offset1:189
	ds_read2_b64 v[92:95], v159 offset0:124 offset1:187
	;; [unrolled: 1-line block ×3, first 2 shown]
	s_waitcnt lgkmcnt(0)
	s_barrier
	buffer_gl0_inv
	buffer_load_dword v166, off, s[20:23], 0 offset:272 ; 4-byte Folded Reload
	v_fmamk_f32 v106, v162, 0xbf5db3d7, v68
	v_fmac_f32_e32 v68, 0x3f5db3d7, v162
	buffer_load_dword v162, off, s[20:23], 0 offset:284 ; 4-byte Folded Reload
	v_fmamk_f32 v107, v163, 0x3f5db3d7, v69
	v_fmac_f32_e32 v69, 0xbf5db3d7, v163
	s_waitcnt vmcnt(1)
	ds_write2_b64 v166, v[104:105], v[106:107] offset1:8
	ds_write_b64 v166, v[68:69] offset:128
	v_add_f32_e32 v68, v167, v165
	v_add_f32_e32 v105, v164, v168
	;; [unrolled: 1-line block ×3, first 2 shown]
	v_sub_f32_e32 v106, v164, v168
	v_sub_f32_e32 v107, v167, v165
	v_fma_f32 v70, -0.5, v68, v70
	v_add_f32_e32 v68, v71, v164
	v_fmac_f32_e32 v71, -0.5, v105
	v_add_f32_e32 v69, v68, v168
	v_add_f32_e32 v68, v104, v165
	v_fmamk_f32 v104, v106, 0xbf5db3d7, v70
	v_fmamk_f32 v105, v107, 0x3f5db3d7, v71
	v_fmac_f32_e32 v70, 0x3f5db3d7, v106
	v_fmac_f32_e32 v71, 0xbf5db3d7, v107
	buffer_load_dword v106, off, s[20:23], 0 offset:280 ; 4-byte Folded Reload
	v_sub_f32_e32 v107, v178, v180
	s_waitcnt vmcnt(1)
	ds_write2_b64 v162, v[68:69], v[104:105] offset1:8
	v_add_f32_e32 v68, v85, v120
	ds_write_b64 v162, v[70:71] offset:128
	v_add_f32_e32 v70, v169, v121
	v_sub_f32_e32 v104, v120, v122
	v_add_f32_e32 v71, v120, v122
	v_add_f32_e32 v69, v68, v122
	;; [unrolled: 1-line block ×3, first 2 shown]
	v_fma_f32 v70, -0.5, v70, v84
	v_sub_f32_e32 v105, v169, v121
	v_fma_f32 v71, -0.5, v71, v85
	v_add_f32_e32 v68, v68, v121
	v_fmamk_f32 v84, v104, 0xbf5db3d7, v70
	v_fmac_f32_e32 v70, 0x3f5db3d7, v104
	buffer_load_dword v104, off, s[20:23], 0 offset:276 ; 4-byte Folded Reload
	v_fmamk_f32 v85, v105, 0x3f5db3d7, v71
	v_fmac_f32_e32 v71, 0xbf5db3d7, v105
	v_sub_f32_e32 v105, v111, v176
	s_waitcnt vmcnt(1)
	ds_write2_b64 v106, v[68:69], v[84:85] offset1:8
	ds_write_b64 v106, v[70:71] offset:128
	v_add_f32_e32 v68, v123, v125
	v_add_f32_e32 v71, v124, v126
	;; [unrolled: 1-line block ×3, first 2 shown]
	v_sub_f32_e32 v84, v124, v126
	v_sub_f32_e32 v85, v123, v125
	v_fma_f32 v86, -0.5, v68, v86
	v_add_f32_e32 v68, v87, v124
	v_fmac_f32_e32 v87, -0.5, v71
	v_sub_f32_e32 v106, v179, v181
	v_add_f32_e32 v69, v68, v126
	v_add_f32_e32 v68, v70, v125
	v_fmamk_f32 v70, v84, 0xbf5db3d7, v86
	v_fmamk_f32 v71, v85, 0x3f5db3d7, v87
	v_fmac_f32_e32 v86, 0x3f5db3d7, v84
	v_add_f32_e32 v84, v92, v127
	v_fmac_f32_e32 v87, 0xbf5db3d7, v85
	s_waitcnt vmcnt(0)
	ds_write2_b64 v104, v[68:69], v[70:71] offset1:8
	v_add_f32_e32 v68, v127, v172
	v_add_f32_e32 v69, v171, v108
	ds_write_b64 v104, v[86:87] offset:128
	v_add_f32_e32 v70, v93, v171
	v_sub_f32_e32 v86, v171, v108
	v_fma_f32 v68, -0.5, v68, v92
	buffer_load_dword v92, off, s[20:23], 0 offset:260 ; 4-byte Folded Reload
	v_fma_f32 v69, -0.5, v69, v93
	v_sub_f32_e32 v87, v127, v172
	v_add_f32_e32 v71, v70, v108
	v_add_f32_e32 v70, v84, v172
	v_fmamk_f32 v84, v86, 0xbf5db3d7, v68
	v_fmac_f32_e32 v68, 0x3f5db3d7, v86
	v_fmamk_f32 v85, v87, 0x3f5db3d7, v69
	v_fmac_f32_e32 v69, 0xbf5db3d7, v87
	v_add_f32_e32 v86, v111, v176
	v_add_f32_e32 v93, v175, v177
	v_sub_f32_e32 v104, v175, v177
	s_waitcnt vmcnt(0)
	ds_write2_b64 v92, v[70:71], v[84:85] offset1:8
	v_add_f32_e32 v70, v109, v174
	v_add_f32_e32 v84, v173, v110
	;; [unrolled: 1-line block ×3, first 2 shown]
	ds_write_b64 v92, v[68:69] offset:128
	v_add_f32_e32 v69, v95, v173
	v_fma_f32 v94, -0.5, v70, v94
	v_sub_f32_e32 v70, v173, v110
	v_fmac_f32_e32 v95, -0.5, v84
	v_sub_f32_e32 v84, v109, v174
	v_add_f32_e32 v85, v101, v175
	v_add_f32_e32 v92, v100, v111
	v_fmamk_f32 v68, v70, 0xbf5db3d7, v94
	v_fmac_f32_e32 v94, 0x3f5db3d7, v70
	v_add_f32_e32 v70, v71, v174
	v_add_f32_e32 v71, v69, v110
	v_fmamk_f32 v69, v84, 0x3f5db3d7, v95
	v_fmac_f32_e32 v95, 0xbf5db3d7, v84
	v_fma_f32 v84, -0.5, v86, v100
	v_add_f32_e32 v87, v85, v177
	v_fma_f32 v85, -0.5, v93, v101
	v_add_f32_e32 v93, v178, v180
	v_add_f32_e32 v86, v92, v176
	v_fmamk_f32 v92, v104, 0xbf5db3d7, v84
	v_add_f32_e32 v100, v179, v181
	v_fmac_f32_e32 v84, 0x3f5db3d7, v104
	v_add_f32_e32 v104, v102, v178
	v_fma_f32 v102, -0.5, v93, v102
	v_add_f32_e32 v101, v103, v179
	v_fmac_f32_e32 v103, -0.5, v100
	v_fmamk_f32 v93, v105, 0x3f5db3d7, v85
	v_add_f32_e32 v100, v104, v180
	v_fmamk_f32 v104, v106, 0xbf5db3d7, v102
	v_fmac_f32_e32 v102, 0x3f5db3d7, v106
	buffer_load_dword v106, off, s[20:23], 0 offset:240 ; 4-byte Folded Reload
	v_fmac_f32_e32 v85, 0xbf5db3d7, v105
	v_add_f32_e32 v101, v101, v181
	v_fmamk_f32 v105, v107, 0x3f5db3d7, v103
	v_fmac_f32_e32 v103, 0xbf5db3d7, v107
	s_waitcnt vmcnt(0)
	ds_write2_b64 v106, v[70:71], v[68:69] offset1:8
	ds_write_b64 v106, v[94:95] offset:128
	buffer_load_dword v68, off, s[20:23], 0 offset:248 ; 4-byte Folded Reload
	s_waitcnt vmcnt(0)
	ds_write2_b64 v68, v[86:87], v[92:93] offset1:8
	ds_write_b64 v68, v[84:85] offset:128
	buffer_load_dword v68, off, s[20:23], 0 offset:252 ; 4-byte Folded Reload
	s_waitcnt vmcnt(0)
	ds_write2_b64 v68, v[100:101], v[104:105] offset1:8
	ds_write_b64 v68, v[102:103] offset:128
	s_waitcnt lgkmcnt(0)
	s_barrier
	buffer_gl0_inv
	ds_read2_b64 v[68:71], v160 offset0:120 offset1:183
	ds_read2_b64 v[84:87], v156 offset0:112 offset1:175
	;; [unrolled: 1-line block ×5, first 2 shown]
	s_waitcnt lgkmcnt(4)
	v_mul_f32_e32 v108, v33, v69
	v_mul_f32_e32 v33, v33, v68
	s_waitcnt lgkmcnt(3)
	v_mul_f32_e32 v109, v35, v85
	v_mul_f32_e32 v35, v35, v84
	v_fmac_f32_e32 v108, v32, v68
	v_fma_f32 v68, v32, v69, -v33
	v_mul_f32_e32 v69, v17, v71
	v_fmac_f32_e32 v109, v34, v84
	v_mul_f32_e32 v17, v17, v70
	v_fma_f32 v84, v34, v85, -v35
	v_mul_f32_e32 v85, v19, v87
	v_mul_f32_e32 v19, v19, v86
	ds_read2_b64 v[32:35], v161 offset0:108 offset1:171
	v_fmac_f32_e32 v69, v16, v70
	v_fma_f32 v70, v16, v71, -v17
	s_waitcnt lgkmcnt(3)
	v_mul_f32_e32 v71, v41, v93
	v_fmac_f32_e32 v85, v18, v86
	v_mul_f32_e32 v41, v41, v92
	v_fma_f32 v86, v18, v87, -v19
	ds_read2_b64 v[16:19], v145 offset0:114 offset1:177
	s_waitcnt lgkmcnt(3)
	v_mul_f32_e32 v87, v43, v101
	v_mul_f32_e32 v43, v43, v100
	v_fmac_f32_e32 v71, v40, v92
	v_fma_f32 v92, v40, v93, -v41
	v_mul_f32_e32 v93, v21, v95
	v_fmac_f32_e32 v87, v42, v100
	v_mul_f32_e32 v21, v21, v94
	v_fma_f32 v100, v42, v101, -v43
	v_mul_f32_e32 v101, v23, v103
	v_mul_f32_e32 v23, v23, v102
	v_fmac_f32_e32 v93, v20, v94
	v_fma_f32 v94, v20, v95, -v21
	ds_read2_b64 v[40:43], v158 offset0:106 offset1:169
	v_fmac_f32_e32 v101, v22, v102
	v_fma_f32 v102, v22, v103, -v23
	ds_read2_b64 v[20:23], v255 offset1:63
	s_waitcnt lgkmcnt(4)
	v_mul_f32_e32 v95, v45, v105
	v_mul_f32_e32 v45, v45, v104
	s_waitcnt lgkmcnt(3)
	v_mul_f32_e32 v103, v47, v33
	v_mul_f32_e32 v47, v47, v32
	;; [unrolled: 1-line block ×3, first 2 shown]
	v_fmac_f32_e32 v95, v44, v104
	v_fma_f32 v104, v44, v105, -v45
	v_mul_f32_e32 v105, v29, v107
	v_fmac_f32_e32 v103, v46, v32
	v_mul_f32_e32 v29, v29, v106
	v_mul_f32_e32 v31, v31, v34
	s_waitcnt lgkmcnt(2)
	v_mul_f32_e32 v32, v49, v16
	v_fma_f32 v110, v46, v33, -v47
	v_fmac_f32_e32 v105, v28, v106
	v_fma_f32 v106, v28, v107, -v29
	v_mul_f32_e32 v107, v49, v17
	v_fma_f32 v120, v30, v35, -v31
	v_fma_f32 v122, v48, v17, -v32
	v_mul_f32_e32 v123, v37, v19
	v_mul_f32_e32 v17, v37, v18
	v_add_f32_e32 v33, v108, v109
	v_add_f32_e32 v35, v68, v84
	ds_read2_b64 v[44:47], v255 offset0:126 offset1:189
	v_fmac_f32_e32 v111, v30, v34
	v_fmac_f32_e32 v123, v36, v18
	s_waitcnt lgkmcnt(2)
	v_mul_f32_e32 v32, v39, v42
	v_fma_f32 v126, v36, v19, -v17
	s_waitcnt lgkmcnt(1)
	v_add_f32_e32 v34, v20, v108
	v_fma_f32 v20, -0.5, v33, v20
	v_sub_f32_e32 v33, v68, v84
	v_add_f32_e32 v36, v21, v68
	v_fma_f32 v21, -0.5, v35, v21
	v_sub_f32_e32 v37, v108, v109
	v_mul_f32_e32 v121, v51, v41
	v_fmac_f32_e32 v107, v48, v16
	v_mul_f32_e32 v16, v51, v40
	v_mul_f32_e32 v125, v39, v43
	v_fma_f32 v127, v38, v43, -v32
	v_add_f32_e32 v32, v34, v109
	v_fmamk_f32 v34, v33, 0xbf5db3d7, v20
	v_fmac_f32_e32 v20, 0x3f5db3d7, v33
	v_add_f32_e32 v33, v36, v84
	v_add_f32_e32 v36, v69, v85
	v_fmamk_f32 v35, v37, 0x3f5db3d7, v21
	v_fmac_f32_e32 v21, 0xbf5db3d7, v37
	v_add_f32_e32 v37, v70, v86
	v_fmac_f32_e32 v121, v50, v40
	v_fma_f32 v124, v50, v41, -v16
	v_fmac_f32_e32 v125, v38, v42
	v_add_f32_e32 v38, v22, v69
	v_fma_f32 v22, -0.5, v36, v22
	v_sub_f32_e32 v39, v70, v86
	v_add_f32_e32 v40, v23, v70
	v_fmac_f32_e32 v23, -0.5, v37
	v_sub_f32_e32 v41, v69, v85
	v_add_f32_e32 v36, v38, v85
	v_fmamk_f32 v38, v39, 0xbf5db3d7, v22
	v_fmac_f32_e32 v22, 0x3f5db3d7, v39
	v_add_f32_e32 v37, v40, v86
	v_add_f32_e32 v40, v71, v87
	v_fmamk_f32 v39, v41, 0x3f5db3d7, v23
	v_fmac_f32_e32 v23, 0xbf5db3d7, v41
	v_add_f32_e32 v41, v92, v100
	ds_read2_b64 v[28:31], v159 offset0:124 offset1:187
	s_waitcnt lgkmcnt(1)
	v_fma_f32 v40, -0.5, v40, v44
	v_sub_f32_e32 v43, v92, v100
	v_add_f32_e32 v48, v45, v92
	v_fma_f32 v41, -0.5, v41, v45
	v_sub_f32_e32 v49, v71, v87
	v_add_f32_e32 v42, v44, v71
	v_fmamk_f32 v44, v43, 0xbf5db3d7, v40
	v_fmac_f32_e32 v40, 0x3f5db3d7, v43
	v_add_f32_e32 v43, v48, v100
	v_add_f32_e32 v48, v93, v101
	v_fmamk_f32 v45, v49, 0x3f5db3d7, v41
	v_fmac_f32_e32 v41, 0xbf5db3d7, v49
	v_add_f32_e32 v49, v94, v102
	v_add_f32_e32 v50, v46, v93
	v_fma_f32 v46, -0.5, v48, v46
	v_sub_f32_e32 v51, v94, v102
	v_add_f32_e32 v68, v47, v94
	v_fmac_f32_e32 v47, -0.5, v49
	v_sub_f32_e32 v69, v93, v101
	ds_read2_b64 v[16:19], v154 offset0:122 offset1:185
	v_add_f32_e32 v48, v50, v101
	v_fmamk_f32 v50, v51, 0xbf5db3d7, v46
	v_fmac_f32_e32 v46, 0x3f5db3d7, v51
	v_add_f32_e32 v49, v68, v102
	v_add_f32_e32 v68, v95, v103
	v_fmamk_f32 v51, v69, 0x3f5db3d7, v47
	v_fmac_f32_e32 v47, 0xbf5db3d7, v69
	v_add_f32_e32 v69, v104, v110
	s_waitcnt lgkmcnt(1)
	v_add_f32_e32 v70, v28, v95
	v_fma_f32 v28, -0.5, v68, v28
	v_sub_f32_e32 v71, v104, v110
	v_add_f32_e32 v84, v29, v104
	v_fma_f32 v29, -0.5, v69, v29
	v_sub_f32_e32 v85, v95, v103
	v_add_f32_e32 v68, v70, v103
	v_fmamk_f32 v70, v71, 0xbf5db3d7, v28
	v_fmac_f32_e32 v28, 0x3f5db3d7, v71
	v_add_f32_e32 v92, v31, v106
	v_fmamk_f32 v71, v85, 0x3f5db3d7, v29
	v_fmac_f32_e32 v29, 0xbf5db3d7, v85
	v_add_f32_e32 v85, v106, v120
	v_add_f32_e32 v69, v84, v110
	;; [unrolled: 1-line block ×5, first 2 shown]
	v_fmac_f32_e32 v31, -0.5, v85
	v_add_f32_e32 v85, v92, v120
	v_add_f32_e32 v92, v107, v121
	v_fma_f32 v30, -0.5, v84, v30
	v_sub_f32_e32 v87, v106, v120
	v_sub_f32_e32 v93, v105, v111
	v_add_f32_e32 v94, v122, v124
	s_waitcnt lgkmcnt(0)
	v_add_f32_e32 v95, v16, v107
	v_fma_f32 v16, -0.5, v92, v16
	v_sub_f32_e32 v100, v122, v124
	v_add_f32_e32 v84, v86, v111
	v_fmamk_f32 v86, v87, 0xbf5db3d7, v30
	v_fmac_f32_e32 v30, 0x3f5db3d7, v87
	v_fmamk_f32 v87, v93, 0x3f5db3d7, v31
	v_fmac_f32_e32 v31, 0xbf5db3d7, v93
	v_add_f32_e32 v93, v17, v122
	v_fma_f32 v17, -0.5, v94, v17
	v_fmamk_f32 v94, v100, 0xbf5db3d7, v16
	v_fmac_f32_e32 v16, 0x3f5db3d7, v100
	v_add_f32_e32 v100, v123, v125
	v_add_f32_e32 v102, v18, v123
	v_sub_f32_e32 v104, v126, v127
	s_barrier
	v_fma_f32 v18, -0.5, v100, v18
	v_add_f32_e32 v100, v102, v125
	buffer_gl0_inv
	v_sub_f32_e32 v101, v107, v121
	v_add_f32_e32 v92, v95, v121
	v_fmamk_f32 v102, v104, 0xbf5db3d7, v18
	v_fmac_f32_e32 v18, 0x3f5db3d7, v104
	buffer_load_dword v104, off, s[20:23], 0 offset:204 ; 4-byte Folded Reload
	v_add_f32_e32 v93, v93, v124
	v_fmamk_f32 v95, v101, 0x3f5db3d7, v17
	v_fmac_f32_e32 v17, 0xbf5db3d7, v101
	v_add_f32_e32 v101, v126, v127
	v_add_f32_e32 v103, v19, v126
	v_sub_f32_e32 v105, v123, v125
	s_waitcnt vmcnt(0)
	ds_write2_b64 v104, v[32:33], v[34:35] offset1:24
	ds_write_b64 v104, v[20:21] offset:384
	buffer_load_dword v20, off, s[20:23], 0 offset:208 ; 4-byte Folded Reload
	v_fmac_f32_e32 v19, -0.5, v101
	v_add_f32_e32 v101, v103, v127
	s_waitcnt vmcnt(0)
	ds_write2_b64 v20, v[36:37], v[38:39] offset1:24
	ds_write_b64 v20, v[22:23] offset:384
	buffer_load_dword v20, off, s[20:23], 0 offset:212 ; 4-byte Folded Reload
	v_fmamk_f32 v103, v105, 0x3f5db3d7, v19
	v_fmac_f32_e32 v19, 0xbf5db3d7, v105
	s_waitcnt vmcnt(0)
	ds_write2_b64 v20, v[42:43], v[44:45] offset1:24
	ds_write_b64 v20, v[40:41] offset:384
	buffer_load_dword v20, off, s[20:23], 0 offset:216 ; 4-byte Folded Reload
	s_waitcnt vmcnt(0)
	ds_write2_b64 v20, v[48:49], v[50:51] offset1:24
	ds_write_b64 v20, v[46:47] offset:384
	buffer_load_dword v20, off, s[20:23], 0 offset:220 ; 4-byte Folded Reload
	;; [unrolled: 4-line block ×5, first 2 shown]
	s_waitcnt vmcnt(0)
	ds_write2_b64 v16, v[100:101], v[102:103] offset1:24
	ds_write_b64 v16, v[18:19] offset:384
	s_waitcnt lgkmcnt(0)
	s_barrier
	buffer_gl0_inv
	ds_read2_b64 v[20:23], v160 offset0:120 offset1:183
	ds_read2_b64 v[28:31], v156 offset0:112 offset1:175
	ds_read2_b64 v[32:35], v255 offset1:63
	ds_read2_b64 v[36:39], v255 offset0:126 offset1:189
	ds_read2_b64 v[40:43], v157 offset0:118 offset1:181
	;; [unrolled: 1-line block ×9, first 2 shown]
	s_waitcnt lgkmcnt(0)
	s_barrier
	buffer_gl0_inv
	v_mul_f32_e32 v104, v9, v21
	v_mul_f32_e32 v9, v9, v20
	;; [unrolled: 1-line block ×4, first 2 shown]
	v_fmac_f32_e32 v104, v8, v20
	v_mul_f32_e32 v20, v5, v23
	v_mul_f32_e32 v5, v5, v22
	v_fma_f32 v8, v8, v21, -v9
	v_fmac_f32_e32 v105, v10, v28
	v_mul_f32_e32 v28, v3, v45
	v_fmac_f32_e32 v20, v4, v22
	v_fma_f32 v21, v4, v23, -v5
	v_mul_f32_e32 v22, v1, v41
	v_mul_f32_e32 v1, v1, v40
	;; [unrolled: 1-line block ×5, first 2 shown]
	v_fmac_f32_e32 v22, v0, v40
	v_fma_f32 v0, v0, v41, -v1
	v_mul_f32_e32 v1, v25, v43
	v_fmac_f32_e32 v28, v2, v44
	v_fma_f32 v2, v2, v45, -v3
	v_mul_f32_e32 v3, v27, v47
	v_fma_f32 v25, v24, v43, -v4
	v_mul_f32_e32 v4, v13, v68
	v_fma_f32 v27, v26, v47, -v5
	v_mul_f32_e32 v5, v15, v84
	v_fma_f32 v9, v10, v29, -v11
	v_fmac_f32_e32 v1, v24, v42
	v_fma_f32 v29, v12, v69, -v4
	v_mul_f32_e32 v4, v57, v70
	v_fma_f32 v42, v14, v85, -v5
	v_mul_f32_e32 v5, v59, v86
	v_fmac_f32_e32 v3, v26, v46
	v_mul_f32_e32 v45, v53, v93
	v_fma_f32 v44, v56, v71, -v4
	v_mul_f32_e32 v4, v53, v92
	v_fma_f32 v46, v58, v87, -v5
	v_mul_f32_e32 v47, v55, v101
	v_mul_f32_e32 v5, v55, v100
	;; [unrolled: 1-line block ×5, first 2 shown]
	v_fmac_f32_e32 v45, v52, v92
	v_fma_f32 v52, v52, v93, -v4
	v_fmac_f32_e32 v47, v54, v100
	v_mul_f32_e32 v4, v61, v94
	v_fma_f32 v54, v54, v101, -v5
	v_mul_f32_e32 v5, v63, v102
	v_fma_f32 v23, v6, v31, -v7
	v_mul_f32_e32 v31, v13, v69
	v_fmac_f32_e32 v41, v56, v70
	v_fma_f32 v56, v60, v95, -v4
	v_add_f32_e32 v4, v104, v105
	v_fma_f32 v57, v62, v103, -v5
	v_add_f32_e32 v5, v8, v9
	v_fmac_f32_e32 v11, v6, v30
	v_fmac_f32_e32 v31, v12, v68
	v_add_f32_e32 v6, v32, v104
	v_fma_f32 v4, -0.5, v4, v32
	v_sub_f32_e32 v7, v8, v9
	v_add_f32_e32 v10, v33, v8
	v_fma_f32 v5, -0.5, v5, v33
	v_sub_f32_e32 v12, v104, v105
	v_add_f32_e32 v6, v6, v105
	v_fmamk_f32 v8, v7, 0xbf5db3d7, v4
	v_fmac_f32_e32 v4, 0x3f5db3d7, v7
	v_add_f32_e32 v7, v10, v9
	v_fmamk_f32 v9, v12, 0x3f5db3d7, v5
	v_fmac_f32_e32 v5, 0xbf5db3d7, v12
	ds_write2_b64 v255, v[6:7], v[8:9] offset1:72
	ds_write_b64 v255, v[4:5] offset:1152
	buffer_load_dword v4, off, s[20:23], 0 offset:236 ; 4-byte Folded Reload
	v_mul_f32_e32 v40, v15, v85
	v_add_f32_e32 v10, v20, v11
	v_add_f32_e32 v13, v34, v20
	;; [unrolled: 1-line block ×3, first 2 shown]
	v_sub_f32_e32 v15, v20, v11
	v_fmac_f32_e32 v40, v14, v84
	v_fma_f32 v34, -0.5, v10, v34
	v_sub_f32_e32 v14, v21, v23
	v_add_f32_e32 v10, v13, v11
	v_add_f32_e32 v13, v35, v21
	v_fmac_f32_e32 v35, -0.5, v12
	v_add_f32_e32 v20, v36, v22
	v_fmamk_f32 v12, v14, 0xbf5db3d7, v34
	v_fmac_f32_e32 v34, 0x3f5db3d7, v14
	v_add_f32_e32 v11, v13, v23
	v_fmamk_f32 v13, v15, 0x3f5db3d7, v35
	v_fmac_f32_e32 v35, 0xbf5db3d7, v15
	v_add_f32_e32 v14, v22, v28
	v_add_f32_e32 v15, v0, v2
	v_sub_f32_e32 v21, v0, v2
	v_add_f32_e32 v0, v37, v0
	v_sub_f32_e32 v24, v22, v28
	v_fma_f32 v14, -0.5, v14, v36
	v_fma_f32 v15, -0.5, v15, v37
	v_add_f32_e32 v20, v20, v28
	v_add_f32_e32 v26, v25, v27
	v_mul_f32_e32 v43, v59, v87
	v_fmamk_f32 v22, v21, 0xbf5db3d7, v14
	v_fmac_f32_e32 v14, 0x3f5db3d7, v21
	v_add_f32_e32 v21, v0, v2
	v_fmamk_f32 v23, v24, 0x3f5db3d7, v15
	v_fmac_f32_e32 v15, 0xbf5db3d7, v24
	v_add_f32_e32 v0, v1, v3
	v_add_f32_e32 v2, v38, v1
	s_waitcnt vmcnt(0)
	ds_write2_b64 v4, v[10:11], v[12:13] offset1:72
	ds_write_b64 v4, v[34:35] offset:1152
	buffer_load_dword v4, off, s[20:23], 0 offset:244 ; 4-byte Folded Reload
	v_fma_f32 v38, -0.5, v0, v38
	v_sub_f32_e32 v0, v25, v27
	v_add_f32_e32 v24, v2, v3
	v_add_f32_e32 v2, v39, v25
	v_fmac_f32_e32 v39, -0.5, v26
	v_sub_f32_e32 v1, v1, v3
	v_fmamk_f32 v26, v0, 0xbf5db3d7, v38
	v_fmac_f32_e32 v38, 0x3f5db3d7, v0
	v_add_f32_e32 v25, v2, v27
	v_add_f32_e32 v0, v31, v40
	v_fmamk_f32 v27, v1, 0x3f5db3d7, v39
	v_fmac_f32_e32 v39, 0xbf5db3d7, v1
	v_add_f32_e32 v2, v48, v31
	v_add_f32_e32 v1, v29, v42
	v_fma_f32 v28, -0.5, v0, v48
	v_sub_f32_e32 v0, v29, v42
	v_fmac_f32_e32 v43, v58, v86
	v_add_f32_e32 v30, v2, v40
	v_add_f32_e32 v2, v49, v29
	v_fma_f32 v29, -0.5, v1, v49
	v_sub_f32_e32 v1, v31, v40
	v_fmamk_f32 v32, v0, 0xbf5db3d7, v28
	v_fmac_f32_e32 v28, 0x3f5db3d7, v0
	v_add_f32_e32 v31, v2, v42
	v_add_f32_e32 v0, v41, v43
	v_fmamk_f32 v33, v1, 0x3f5db3d7, v29
	v_fmac_f32_e32 v29, 0xbf5db3d7, v1
	v_add_f32_e32 v2, v50, v41
	v_add_f32_e32 v1, v44, v46
	v_fma_f32 v50, -0.5, v0, v50
	v_sub_f32_e32 v0, v44, v46
	v_mul_f32_e32 v53, v61, v95
	v_add_f32_e32 v36, v2, v43
	v_add_f32_e32 v2, v51, v44
	s_waitcnt vmcnt(0)
	ds_write2_b64 v4, v[20:21], v[22:23] offset1:72
	ds_write_b64 v4, v[14:15] offset:1152
	buffer_load_dword v4, off, s[20:23], 0 offset:256 ; 4-byte Folded Reload
	v_fmac_f32_e32 v51, -0.5, v1
	v_sub_f32_e32 v1, v41, v43
	v_fmamk_f32 v40, v0, 0xbf5db3d7, v50
	v_add_f32_e32 v37, v2, v46
	v_fmac_f32_e32 v50, 0x3f5db3d7, v0
	v_mul_f32_e32 v55, v63, v103
	v_fmamk_f32 v41, v1, 0x3f5db3d7, v51
	v_fmac_f32_e32 v51, 0xbf5db3d7, v1
	v_add_f32_e32 v0, v45, v47
	v_add_f32_e32 v2, v16, v45
	v_add_f32_e32 v1, v52, v54
	v_fmac_f32_e32 v53, v60, v94
	v_fmac_f32_e32 v55, v62, v102
	v_fma_f32 v16, -0.5, v0, v16
	v_sub_f32_e32 v0, v52, v54
	v_add_f32_e32 v42, v2, v47
	v_add_f32_e32 v2, v17, v52
	v_fma_f32 v17, -0.5, v1, v17
	v_sub_f32_e32 v1, v45, v47
	v_fmamk_f32 v44, v0, 0xbf5db3d7, v16
	v_fmac_f32_e32 v16, 0x3f5db3d7, v0
	v_add_f32_e32 v0, v53, v55
	v_add_f32_e32 v43, v2, v54
	v_fmamk_f32 v45, v1, 0x3f5db3d7, v17
	v_fmac_f32_e32 v17, 0xbf5db3d7, v1
	v_add_f32_e32 v1, v56, v57
	v_add_f32_e32 v2, v18, v53
	v_fma_f32 v18, -0.5, v0, v18
	v_sub_f32_e32 v3, v56, v57
	v_add_f32_e32 v46, v19, v56
	v_fmac_f32_e32 v19, -0.5, v1
	v_sub_f32_e32 v47, v53, v55
	v_add_f32_e32 v0, v2, v55
	v_fmamk_f32 v2, v3, 0xbf5db3d7, v18
	s_waitcnt vmcnt(0)
	ds_write2_b64 v4, v[24:25], v[26:27] offset1:72
	ds_write_b64 v4, v[38:39] offset:1152
	buffer_load_dword v4, off, s[20:23], 0 offset:264 ; 4-byte Folded Reload
	v_fmac_f32_e32 v18, 0x3f5db3d7, v3
	v_add_f32_e32 v1, v46, v57
	v_fmamk_f32 v3, v47, 0x3f5db3d7, v19
	v_fmac_f32_e32 v19, 0xbf5db3d7, v47
	s_waitcnt vmcnt(0)
	ds_write2_b64 v4, v[30:31], v[32:33] offset1:72
	ds_write_b64 v4, v[28:29] offset:1152
	s_clause 0x1
	buffer_load_dword v6, off, s[20:23], 0 offset:292
	buffer_load_dword v5, off, s[20:23], 0 offset:268
	s_waitcnt vmcnt(0)
	ds_write2_b64 v5, v[36:37], v[40:41] offset1:72
	ds_write_b64 v5, v[50:51] offset:1152
	buffer_load_dword v5, off, s[20:23], 0 offset:288 ; 4-byte Folded Reload
	v_add_nc_u32_e32 v4, 0x2800, v6
	s_waitcnt vmcnt(0)
	ds_write2_b64 v5, v[42:43], v[44:45] offset1:72
	ds_write_b64 v5, v[16:17] offset:1152
	ds_write2_b64 v4, v[0:1], v[2:3] offset0:16 offset1:88
	ds_write_b64 v6, v[18:19] offset:11520
	s_waitcnt lgkmcnt(0)
	s_barrier
	buffer_gl0_inv
	ds_read2_b64 v[8:11], v255 offset1:63
	ds_read2_b64 v[4:7], v255 offset0:126 offset1:216
	ds_read2_b64 v[44:47], v154 offset0:176 offset1:239
	;; [unrolled: 1-line block ×9, first 2 shown]
	ds_read_b64 v[16:17], v255 offset:11376
	s_and_saveexec_b32 s0, vcc_lo
	s_cbranch_execz .LBB0_7
; %bb.6:
	v_add_nc_u32_e32 v0, 0x1300, v255
	ds_read2_b64 v[144:147], v0 offset0:13 offset1:229
	v_add_nc_u32_e32 v0, 0x500, v255
	ds_read2_b64 v[148:151], v155 offset0:29 offset1:245
	ds_read_b64 v[152:153], v255 offset:11880
	ds_read2_b64 v[0:3], v0 offset0:29 offset1:245
	s_waitcnt lgkmcnt(3)
	v_mov_b32_e32 v18, v144
	v_mov_b32_e32 v19, v145
.LBB0_7:
	s_or_b32 exec_lo, exec_lo, s0
	s_waitcnt lgkmcnt(9)
	v_mul_f32_e32 v48, v65, v7
	v_mul_f32_e32 v49, v65, v6
	s_waitcnt lgkmcnt(8)
	v_mul_f32_e32 v50, v67, v45
	v_mul_f32_e32 v51, v67, v44
	s_waitcnt lgkmcnt(7)
	v_mul_f32_e32 v52, v117, v23
	v_fmac_f32_e32 v48, v64, v6
	v_mul_f32_e32 v6, v117, v22
	v_fma_f32 v7, v64, v7, -v49
	v_fmac_f32_e32 v50, v66, v44
	v_fma_f32 v44, v66, v45, -v51
	v_fmac_f32_e32 v52, v116, v22
	s_waitcnt lgkmcnt(6)
	v_mul_f32_e32 v22, v119, v41
	s_waitcnt lgkmcnt(5)
	v_mul_f32_e32 v45, v113, v15
	v_mul_f32_e32 v49, v113, v14
	s_waitcnt lgkmcnt(4)
	v_mul_f32_e32 v51, v115, v33
	v_fma_f32 v6, v116, v23, -v6
	v_mul_f32_e32 v23, v119, v40
	v_fmac_f32_e32 v22, v118, v40
	v_fmac_f32_e32 v45, v112, v14
	v_fma_f32 v14, v112, v15, -v49
	v_fmac_f32_e32 v51, v114, v32
	v_mul_f32_e32 v15, v115, v32
	s_waitcnt lgkmcnt(3)
	v_mul_f32_e32 v32, v97, v37
	v_mul_f32_e32 v40, v97, v36
	v_mul_f32_e32 v49, v99, v46
	v_fma_f32 v23, v118, v41, -v23
	v_mul_f32_e32 v41, v99, v47
	v_fma_f32 v15, v114, v33, -v15
	v_fmac_f32_e32 v32, v96, v36
	v_fma_f32 v33, v96, v37, -v40
	v_fma_f32 v36, v98, v47, -v49
	s_waitcnt lgkmcnt(2)
	v_mul_f32_e32 v37, v89, v29
	v_mul_f32_e32 v40, v89, v28
	;; [unrolled: 1-line block ×3, first 2 shown]
	v_fmac_f32_e32 v41, v98, v46
	v_mul_f32_e32 v46, v91, v43
	v_fmac_f32_e32 v37, v88, v28
	v_fma_f32 v28, v88, v29, -v40
	v_fma_f32 v29, v90, v43, -v47
	v_mul_f32_e32 v40, v79, v35
	v_mul_f32_e32 v43, v73, v39
	;; [unrolled: 1-line block ×3, first 2 shown]
	v_fmac_f32_e32 v46, v90, v42
	v_mul_f32_e32 v42, v79, v34
	v_fmac_f32_e32 v40, v78, v34
	v_fmac_f32_e32 v43, v72, v38
	v_fma_f32 v38, v72, v39, -v47
	v_mul_f32_e32 v34, v75, v20
	v_mul_f32_e32 v47, v83, v13
	s_waitcnt lgkmcnt(1)
	v_mul_f32_e32 v49, v77, v25
	v_mul_f32_e32 v39, v75, v21
	;; [unrolled: 1-line block ×3, first 2 shown]
	v_fma_f32 v53, v74, v21, -v34
	v_fmac_f32_e32 v47, v82, v12
	v_mul_f32_e32 v12, v83, v12
	s_waitcnt lgkmcnt(0)
	v_mul_f32_e32 v21, v143, v16
	v_fmac_f32_e32 v49, v76, v24
	v_mul_f32_e32 v24, v77, v24
	v_fmac_f32_e32 v39, v74, v20
	v_mul_f32_e32 v20, v141, v26
	v_mul_f32_e32 v56, v143, v17
	v_fma_f32 v57, v82, v13, -v12
	v_fma_f32 v59, v142, v17, -v21
	v_add_f32_e32 v12, v48, v51
	v_add_f32_e32 v13, v7, v15
	v_sub_f32_e32 v7, v7, v15
	v_add_f32_e32 v15, v50, v45
	v_add_f32_e32 v17, v44, v14
	v_fma_f32 v24, v76, v25, -v24
	v_fma_f32 v25, v78, v35, -v42
	v_mul_f32_e32 v42, v81, v31
	v_mul_f32_e32 v35, v81, v30
	v_fmac_f32_e32 v55, v140, v26
	v_fma_f32 v58, v140, v27, -v20
	v_fmac_f32_e32 v56, v142, v16
	v_sub_f32_e32 v16, v48, v51
	v_sub_f32_e32 v20, v50, v45
	;; [unrolled: 1-line block ×3, first 2 shown]
	v_add_f32_e32 v21, v52, v22
	v_add_f32_e32 v26, v6, v23
	v_sub_f32_e32 v22, v22, v52
	v_sub_f32_e32 v6, v23, v6
	v_add_f32_e32 v23, v15, v12
	v_add_f32_e32 v27, v17, v13
	v_fmac_f32_e32 v42, v80, v30
	v_fma_f32 v54, v80, v31, -v35
	v_sub_f32_e32 v30, v15, v12
	v_sub_f32_e32 v31, v17, v13
	;; [unrolled: 1-line block ×6, first 2 shown]
	v_add_f32_e32 v34, v22, v20
	v_add_f32_e32 v35, v6, v14
	v_sub_f32_e32 v44, v22, v20
	v_sub_f32_e32 v45, v6, v14
	;; [unrolled: 1-line block ×3, first 2 shown]
	v_add_f32_e32 v21, v21, v23
	v_add_f32_e32 v23, v26, v27
	v_sub_f32_e32 v14, v14, v7
	v_sub_f32_e32 v22, v16, v22
	;; [unrolled: 1-line block ×3, first 2 shown]
	v_add_f32_e32 v16, v34, v16
	v_add_f32_e32 v26, v35, v7
	v_add_f32_e32 v6, v8, v21
	v_add_f32_e32 v7, v9, v23
	v_mul_f32_e32 v8, 0x3f4a47b2, v12
	v_mul_f32_e32 v9, 0x3f4a47b2, v13
	;; [unrolled: 1-line block ×8, first 2 shown]
	v_fmamk_f32 v21, v21, 0xbf955555, v6
	v_fmamk_f32 v23, v23, 0xbf955555, v7
	;; [unrolled: 1-line block ×4, first 2 shown]
	v_fma_f32 v12, 0x3f3bfb3b, v30, -v12
	v_fma_f32 v13, 0x3f3bfb3b, v31, -v13
	;; [unrolled: 1-line block ×4, first 2 shown]
	v_fmamk_f32 v30, v22, 0xbeae86e6, v27
	v_fmamk_f32 v31, v48, 0xbeae86e6, v34
	v_fma_f32 v20, 0xbf5ff5aa, v20, -v27
	v_fma_f32 v27, 0xbf5ff5aa, v14, -v34
	;; [unrolled: 1-line block ×4, first 2 shown]
	v_add_f32_e32 v35, v15, v21
	v_add_f32_e32 v44, v17, v23
	;; [unrolled: 1-line block ×6, first 2 shown]
	v_fmac_f32_e32 v30, 0xbee1c552, v16
	v_fmac_f32_e32 v31, 0xbee1c552, v26
	;; [unrolled: 1-line block ×6, first 2 shown]
	v_add_f32_e32 v8, v31, v35
	v_sub_f32_e32 v9, v44, v30
	v_add_f32_e32 v12, v34, v21
	v_sub_f32_e32 v13, v23, v22
	v_sub_f32_e32 v14, v17, v27
	v_add_f32_e32 v15, v20, v45
	v_add_f32_e32 v16, v27, v17
	v_sub_f32_e32 v17, v45, v20
	v_sub_f32_e32 v20, v21, v34
	v_add_f32_e32 v21, v22, v23
	v_sub_f32_e32 v22, v35, v31
	v_add_f32_e32 v23, v30, v44
	v_add_f32_e32 v26, v32, v40
	;; [unrolled: 1-line block ×3, first 2 shown]
	v_sub_f32_e32 v30, v32, v40
	v_add_f32_e32 v31, v41, v49
	v_add_f32_e32 v32, v36, v24
	v_sub_f32_e32 v25, v33, v25
	v_sub_f32_e32 v33, v41, v49
	v_sub_f32_e32 v24, v36, v24
	v_add_f32_e32 v34, v37, v46
	v_add_f32_e32 v35, v28, v29
	v_sub_f32_e32 v36, v46, v37
	v_sub_f32_e32 v28, v29, v28
	v_add_f32_e32 v29, v31, v26
	v_add_f32_e32 v37, v32, v27
	v_sub_f32_e32 v40, v31, v26
	v_sub_f32_e32 v41, v32, v27
	v_sub_f32_e32 v26, v26, v34
	v_sub_f32_e32 v27, v27, v35
	v_sub_f32_e32 v31, v34, v31
	v_sub_f32_e32 v32, v35, v32
	v_add_f32_e32 v44, v36, v33
	v_add_f32_e32 v45, v28, v24
	v_sub_f32_e32 v46, v36, v33
	v_sub_f32_e32 v48, v28, v24
	;; [unrolled: 1-line block ×3, first 2 shown]
	v_add_f32_e32 v29, v34, v29
	v_add_f32_e32 v34, v35, v37
	v_sub_f32_e32 v24, v24, v25
	v_sub_f32_e32 v36, v30, v36
	;; [unrolled: 1-line block ×3, first 2 shown]
	v_add_f32_e32 v30, v44, v30
	v_add_f32_e32 v25, v45, v25
	;; [unrolled: 1-line block ×4, first 2 shown]
	v_mul_f32_e32 v26, 0x3f4a47b2, v26
	v_mul_f32_e32 v27, 0x3f4a47b2, v27
	;; [unrolled: 1-line block ×8, first 2 shown]
	v_fmamk_f32 v29, v29, 0xbf955555, v10
	v_fmamk_f32 v34, v34, 0xbf955555, v11
	;; [unrolled: 1-line block ×4, first 2 shown]
	v_fma_f32 v35, 0x3f3bfb3b, v40, -v35
	v_fma_f32 v37, 0x3f3bfb3b, v41, -v37
	;; [unrolled: 1-line block ×4, first 2 shown]
	v_fmamk_f32 v40, v36, 0xbeae86e6, v44
	v_fmamk_f32 v41, v28, 0xbeae86e6, v45
	v_fma_f32 v33, 0xbf5ff5aa, v33, -v44
	v_fma_f32 v44, 0xbf5ff5aa, v24, -v45
	;; [unrolled: 1-line block ×4, first 2 shown]
	v_add_f32_e32 v46, v31, v29
	v_add_f32_e32 v48, v32, v34
	;; [unrolled: 1-line block ×6, first 2 shown]
	v_fmac_f32_e32 v40, 0xbee1c552, v30
	v_fmac_f32_e32 v41, 0xbee1c552, v25
	;; [unrolled: 1-line block ×6, first 2 shown]
	v_add_f32_e32 v24, v41, v46
	v_sub_f32_e32 v25, v48, v40
	v_add_f32_e32 v26, v45, v35
	v_sub_f32_e32 v27, v34, v36
	v_sub_f32_e32 v28, v31, v44
	v_add_f32_e32 v29, v33, v32
	v_add_f32_e32 v30, v44, v31
	v_sub_f32_e32 v31, v32, v33
	v_sub_f32_e32 v32, v35, v45
	v_add_f32_e32 v33, v36, v34
	v_sub_f32_e32 v34, v46, v41
	v_add_f32_e32 v35, v40, v48
	v_add_f32_e32 v36, v43, v56
	;; [unrolled: 1-line block ×3, first 2 shown]
	v_sub_f32_e32 v40, v43, v56
	v_add_f32_e32 v41, v39, v55
	v_add_f32_e32 v43, v53, v58
	v_sub_f32_e32 v38, v38, v59
	v_sub_f32_e32 v39, v39, v55
	v_sub_f32_e32 v44, v53, v58
	v_add_f32_e32 v45, v42, v47
	v_add_f32_e32 v46, v54, v57
	v_sub_f32_e32 v42, v47, v42
	v_sub_f32_e32 v47, v57, v54
	v_add_f32_e32 v48, v41, v36
	v_add_f32_e32 v49, v43, v37
	v_sub_f32_e32 v50, v41, v36
	v_sub_f32_e32 v51, v43, v37
	;; [unrolled: 1-line block ×6, first 2 shown]
	v_add_f32_e32 v52, v42, v39
	v_add_f32_e32 v53, v47, v44
	v_sub_f32_e32 v54, v42, v39
	v_sub_f32_e32 v55, v47, v44
	v_sub_f32_e32 v39, v39, v40
	v_add_f32_e32 v45, v45, v48
	v_add_f32_e32 v46, v46, v49
	v_sub_f32_e32 v44, v44, v38
	v_sub_f32_e32 v42, v40, v42
	;; [unrolled: 1-line block ×3, first 2 shown]
	v_add_f32_e32 v40, v52, v40
	v_add_f32_e32 v38, v53, v38
	;; [unrolled: 1-line block ×4, first 2 shown]
	v_mul_f32_e32 v36, 0x3f4a47b2, v36
	v_mul_f32_e32 v37, 0x3f4a47b2, v37
	v_mul_f32_e32 v48, 0x3d64c772, v41
	v_mul_f32_e32 v49, 0x3d64c772, v43
	v_mul_f32_e32 v52, 0x3f08b237, v54
	v_mul_f32_e32 v53, 0x3f08b237, v55
	v_mul_f32_e32 v54, 0xbf5ff5aa, v39
	v_mul_f32_e32 v55, 0xbf5ff5aa, v44
	v_fmamk_f32 v45, v45, 0xbf955555, v4
	v_fmamk_f32 v46, v46, 0xbf955555, v5
	;; [unrolled: 1-line block ×4, first 2 shown]
	v_fma_f32 v48, 0x3f3bfb3b, v50, -v48
	v_fma_f32 v49, 0x3f3bfb3b, v51, -v49
	;; [unrolled: 1-line block ×4, first 2 shown]
	v_fmamk_f32 v50, v42, 0xbeae86e6, v52
	v_fmamk_f32 v51, v47, 0xbeae86e6, v53
	v_fma_f32 v52, 0xbf5ff5aa, v39, -v52
	v_fma_f32 v44, 0xbf5ff5aa, v44, -v53
	;; [unrolled: 1-line block ×4, first 2 shown]
	v_add_f32_e32 v54, v41, v45
	v_add_f32_e32 v55, v43, v46
	;; [unrolled: 1-line block ×6, first 2 shown]
	v_fmac_f32_e32 v50, 0xbee1c552, v40
	v_fmac_f32_e32 v51, 0xbee1c552, v38
	;; [unrolled: 1-line block ×6, first 2 shown]
	v_add_f32_e32 v36, v51, v54
	v_sub_f32_e32 v37, v55, v50
	v_add_f32_e32 v38, v47, v45
	v_sub_f32_e32 v39, v46, v53
	v_sub_f32_e32 v40, v42, v44
	v_add_f32_e32 v41, v52, v43
	v_add_f32_e32 v42, v44, v42
	v_sub_f32_e32 v43, v43, v52
	v_sub_f32_e32 v44, v45, v47
	v_add_f32_e32 v45, v53, v46
	v_sub_f32_e32 v46, v54, v51
	v_add_f32_e32 v47, v50, v55
	ds_write_b64 v255, v[8:9] offset:1728
	ds_write_b64 v255, v[12:13] offset:3456
	ds_write_b64 v255, v[14:15] offset:5184
	ds_write_b64 v255, v[16:17] offset:6912
	ds_write_b64 v255, v[20:21] offset:8640
	ds_write_b64 v255, v[22:23] offset:10368
	ds_write2_b64 v255, v[6:7], v[10:11] offset1:63
	ds_write_b64 v255, v[26:27] offset:3960
	ds_write_b64 v255, v[28:29] offset:5688
	;; [unrolled: 1-line block ×6, first 2 shown]
	ds_write2_b64 v154, v[24:25], v[36:37] offset0:23 offset1:86
	ds_write_b64 v255, v[38:39] offset:4464
	ds_write_b64 v255, v[40:41] offset:6192
	;; [unrolled: 1-line block ×5, first 2 shown]
	s_and_saveexec_b32 s0, vcc_lo
	s_cbranch_execz .LBB0_9
; %bb.8:
	v_mul_f32_e32 v4, v129, v3
	v_mul_f32_e32 v7, v131, v19
	;; [unrolled: 1-line block ×5, first 2 shown]
	v_fmac_f32_e32 v4, v128, v2
	v_mul_f32_e32 v2, v129, v2
	v_mul_f32_e32 v8, v137, v151
	;; [unrolled: 1-line block ×3, first 2 shown]
	v_fmac_f32_e32 v7, v130, v18
	v_fma_f32 v12, v138, v153, -v12
	v_fma_f32 v2, v128, v3, -v2
	v_mul_f32_e32 v3, v133, v146
	v_mul_f32_e32 v18, v135, v148
	v_fma_f32 v16, v136, v151, -v16
	v_fma_f32 v17, v130, v19, -v17
	v_mul_f32_e32 v5, v135, v149
	v_mul_f32_e32 v6, v133, v147
	v_fmac_f32_e32 v8, v136, v150
	v_fmac_f32_e32 v9, v138, v152
	v_add_f32_e32 v19, v12, v2
	v_fma_f32 v3, v132, v147, -v3
	v_fma_f32 v18, v134, v149, -v18
	v_add_f32_e32 v20, v16, v17
	v_fmac_f32_e32 v5, v134, v148
	v_fmac_f32_e32 v6, v132, v146
	v_sub_f32_e32 v11, v7, v8
	v_sub_f32_e32 v13, v4, v9
	v_add_f32_e32 v22, v3, v18
	v_add_f32_e32 v23, v20, v19
	;; [unrolled: 1-line block ×4, first 2 shown]
	v_sub_f32_e32 v10, v5, v6
	v_sub_f32_e32 v24, v19, v22
	v_add_f32_e32 v23, v22, v23
	v_add_f32_e32 v5, v6, v5
	;; [unrolled: 1-line block ×3, first 2 shown]
	v_sub_f32_e32 v8, v22, v20
	v_mul_f32_e32 v9, 0x3f4a47b2, v24
	v_add_f32_e32 v1, v1, v23
	v_sub_f32_e32 v24, v4, v5
	v_add_f32_e32 v6, v5, v6
	v_mul_f32_e32 v22, 0x3d64c772, v8
	v_fmamk_f32 v8, v8, 0x3d64c772, v9
	v_fmamk_f32 v23, v23, 0xbf955555, v1
	v_sub_f32_e32 v16, v17, v16
	v_mul_f32_e32 v17, 0x3f4a47b2, v24
	v_sub_f32_e32 v5, v5, v7
	v_add_f32_e32 v0, v0, v6
	v_sub_f32_e32 v18, v18, v3
	v_sub_f32_e32 v14, v10, v11
	;; [unrolled: 1-line block ×3, first 2 shown]
	v_add_f32_e32 v10, v10, v11
	v_sub_f32_e32 v2, v2, v12
	v_add_f32_e32 v12, v8, v23
	v_fmamk_f32 v8, v5, 0x3d64c772, v17
	v_fmamk_f32 v6, v6, 0xbf955555, v0
	v_sub_f32_e32 v11, v11, v13
	v_sub_f32_e32 v3, v18, v16
	v_mul_f32_e32 v14, 0x3f08b237, v14
	v_add_f32_e32 v10, v10, v13
	v_add_f32_e32 v26, v8, v6
	v_mul_f32_e32 v8, 0xbf5ff5aa, v11
	v_sub_f32_e32 v13, v20, v19
	v_sub_f32_e32 v4, v7, v4
	;; [unrolled: 1-line block ×4, first 2 shown]
	v_mul_f32_e32 v25, 0x3f08b237, v3
	v_add_f32_e32 v16, v18, v16
	v_fmamk_f32 v21, v15, 0xbeae86e6, v14
	v_mul_f32_e32 v5, 0x3d64c772, v5
	v_fma_f32 v15, 0x3eae86e6, v15, -v8
	v_fma_f32 v8, 0xbf3bfb3b, v13, -v9
	;; [unrolled: 1-line block ×3, first 2 shown]
	v_mul_f32_e32 v17, 0xbf5ff5aa, v7
	v_fmamk_f32 v27, v24, 0xbeae86e6, v25
	v_add_f32_e32 v2, v16, v2
	v_add_f32_e32 v16, v8, v23
	;; [unrolled: 1-line block ×3, first 2 shown]
	v_fma_f32 v17, 0x3eae86e6, v24, -v17
	v_fma_f32 v8, 0x3f3bfb3b, v13, -v22
	;; [unrolled: 1-line block ×5, first 2 shown]
	v_fmac_f32_e32 v21, 0xbee1c552, v10
	v_fmac_f32_e32 v27, 0xbee1c552, v2
	;; [unrolled: 1-line block ×4, first 2 shown]
	v_add_f32_e32 v8, v8, v23
	v_fmac_f32_e32 v9, 0xbee1c552, v10
	v_fmac_f32_e32 v11, 0xbee1c552, v2
	v_add_f32_e32 v10, v4, v6
	v_add_f32_e32 v3, v21, v12
	v_sub_f32_e32 v13, v12, v21
	v_add_f32_e32 v12, v27, v26
	v_add_nc_u32_e32 v14, 0x500, v255
	v_add_f32_e32 v5, v15, v16
	v_sub_f32_e32 v7, v8, v9
	v_add_f32_e32 v6, v11, v10
	v_add_f32_e32 v9, v9, v8
	v_sub_f32_e32 v8, v10, v11
	v_sub_f32_e32 v11, v16, v15
	v_add_f32_e32 v10, v17, v18
	v_add_nc_u32_e32 v15, 0x1300, v255
	v_sub_f32_e32 v4, v18, v17
	v_add_nc_u32_e32 v16, 0x2000, v255
	v_sub_f32_e32 v2, v26, v27
	ds_write2_b64 v14, v[0:1], v[12:13] offset0:29 offset1:245
	ds_write2_b64 v15, v[10:11], v[8:9] offset0:13 offset1:229
	;; [unrolled: 1-line block ×3, first 2 shown]
	ds_write_b64 v255, v[2:3] offset:11880
.LBB0_9:
	s_or_b32 exec_lo, exec_lo, s0
	v_add_nc_u32_e32 v4, 0x1400, v255
	s_waitcnt lgkmcnt(0)
	s_barrier
	buffer_gl0_inv
	ds_read2_b64 v[0:3], v255 offset1:63
	ds_read2_b64 v[4:7], v4 offset0:116 offset1:179
	s_clause 0x1
	buffer_load_dword v8, off, s[20:23], 0
	buffer_load_dword v9, off, s[20:23], 0 offset:4
	v_add_nc_u32_e32 v12, 0x1800, v255
	v_mad_u64_u32 v[18:19], null, s8, v220, 0
	s_mov_b32 s0, 0x6b015ac0
	s_mov_b32 s1, 0x3f45ac05
	s_mul_i32 s5, s9, 0x17a0
	s_mul_hi_u32 s6, s8, 0x17a0
	s_mul_i32 s4, s8, 0x17a0
	s_add_i32 s5, s6, s5
	s_mul_i32 s7, s9, 0xffffea58
	s_waitcnt vmcnt(1)
	v_mov_b32_e32 v26, v8
	s_waitcnt vmcnt(0)
	ds_read2_b64 v[8:11], v255 offset0:126 offset1:189
	s_clause 0x1
	buffer_load_dword v21, off, s[20:23], 0 offset:16
	buffer_load_dword v22, off, s[20:23], 0 offset:20
	v_mad_u64_u32 v[16:17], null, s10, v26, 0
	s_mul_hi_u32 s10, s8, 0xffffea58
	s_sub_i32 s6, s10, s8
	s_waitcnt vmcnt(0) lgkmcnt(2)
	v_mul_f32_e32 v13, v22, v1
	v_mul_f32_e32 v14, v22, v0
	s_clause 0x1
	buffer_load_dword v22, off, s[20:23], 0 offset:192
	buffer_load_dword v23, off, s[20:23], 0 offset:196
	v_fmac_f32_e32 v13, v21, v0
	v_fma_f32 v1, v21, v1, -v14
	v_mov_b32_e32 v0, v17
	s_waitcnt vmcnt(0) lgkmcnt(1)
	v_mul_f32_e32 v15, v23, v5
	v_mul_f32_e32 v20, v23, v4
	v_fmac_f32_e32 v15, v22, v4
	v_fma_f32 v14, v22, v5, -v20
	v_cvt_f64_f32_e32 v[4:5], v13
	v_cvt_f64_f32_e32 v[20:21], v1
	v_mov_b32_e32 v1, v19
	v_cvt_f64_f32_e32 v[22:23], v15
	v_cvt_f64_f32_e32 v[24:25], v14
	ds_read2_b64 v[12:15], v12 offset0:114 offset1:177
	s_clause 0x1
	buffer_load_dword v32, off, s[20:23], 0 offset:24
	buffer_load_dword v33, off, s[20:23], 0 offset:28
	v_mad_u64_u32 v[26:27], null, s11, v26, v[0:1]
	v_mad_u64_u32 v[0:1], null, s9, v220, v[1:2]
	v_mov_b32_e32 v17, v26
	v_mov_b32_e32 v19, v0
	s_waitcnt vmcnt(0)
	v_mul_f32_e32 v1, v33, v3
	v_mul_f32_e32 v27, v33, v2
	s_clause 0x1
	buffer_load_dword v33, off, s[20:23], 0 offset:40
	buffer_load_dword v34, off, s[20:23], 0 offset:44
	v_fmac_f32_e32 v1, v32, v2
	v_fma_f32 v26, v32, v3, -v27
	v_mul_f64 v[2:3], v[4:5], s[0:1]
	v_mul_f64 v[4:5], v[20:21], s[0:1]
	;; [unrolled: 1-line block ×3, first 2 shown]
	v_cvt_f64_f32_e32 v[0:1], v1
	v_mul_f64 v[22:23], v[24:25], s[0:1]
	v_cvt_f64_f32_e32 v[24:25], v26
	v_cvt_f32_f64_e32 v2, v[2:3]
	v_cvt_f32_f64_e32 v3, v[4:5]
	;; [unrolled: 1-line block ×3, first 2 shown]
	v_mul_f64 v[0:1], v[0:1], s[0:1]
	v_cvt_f32_f64_e32 v5, v[22:23]
	s_waitcnt vmcnt(0) lgkmcnt(1)
	v_mul_f32_e32 v28, v34, v9
	v_mul_f32_e32 v29, v34, v8
	s_clause 0x3
	buffer_load_dword v34, off, s[20:23], 0 offset:32
	buffer_load_dword v35, off, s[20:23], 0 offset:36
	;; [unrolled: 1-line block ×4, first 2 shown]
	v_fmac_f32_e32 v28, v33, v8
	v_fma_f32 v26, v33, v9, -v29
	s_waitcnt vmcnt(2)
	v_mul_f32_e32 v30, v35, v11
	v_mul_f32_e32 v31, v35, v10
	s_clause 0x1
	buffer_load_dword v35, off, s[20:23], 0 offset:176
	buffer_load_dword v36, off, s[20:23], 0 offset:180
	s_waitcnt vmcnt(2)
	v_mul_f32_e32 v27, v38, v7
	v_mul_f32_e32 v32, v38, v6
	v_fmac_f32_e32 v30, v34, v10
	v_fma_f32 v31, v34, v11, -v31
	v_fmac_f32_e32 v27, v37, v6
	v_fma_f32 v32, v37, v7, -v32
	v_lshlrev_b64 v[6:7], 3, v[16:17]
	v_lshlrev_b64 v[16:17], 3, v[18:19]
	v_cvt_f64_f32_e32 v[18:19], v28
	v_cvt_f64_f32_e32 v[8:9], v27
	;; [unrolled: 1-line block ×4, first 2 shown]
	v_add_co_u32 v20, vcc_lo, s2, v6
	v_add_co_ci_u32_e32 v21, vcc_lo, s3, v7, vcc_lo
	s_mul_i32 s3, s8, 0xffffea58
	v_add_co_u32 v16, vcc_lo, v20, v16
	v_add_co_ci_u32_e32 v17, vcc_lo, v21, v17, vcc_lo
	s_add_i32 s2, s6, s7
	v_add_co_u32 v20, vcc_lo, v16, s4
	v_add_co_ci_u32_e32 v21, vcc_lo, s5, v17, vcc_lo
	global_store_dwordx2 v[16:17], v[2:3], off
	global_store_dwordx2 v[20:21], v[4:5], off
	v_cvt_f64_f32_e32 v[16:17], v30
	v_mul_f64 v[18:19], v[18:19], s[0:1]
	v_mul_f64 v[8:9], v[8:9], s[0:1]
	;; [unrolled: 1-line block ×4, first 2 shown]
	v_cvt_f64_f32_e32 v[26:27], v31
	v_mul_f64 v[16:17], v[16:17], s[0:1]
	v_cvt_f32_f64_e32 v18, v[18:19]
	v_cvt_f32_f64_e32 v8, v[8:9]
	;; [unrolled: 1-line block ×4, first 2 shown]
	v_mul_f64 v[26:27], v[26:27], s[0:1]
	v_cvt_f32_f64_e32 v16, v[16:17]
	v_cvt_f32_f64_e32 v17, v[26:27]
	s_waitcnt vmcnt(0) lgkmcnt(0)
	v_mul_f32_e32 v29, v36, v13
	v_mul_f32_e32 v33, v36, v12
	v_fmac_f32_e32 v29, v35, v12
	v_fma_f32 v28, v35, v13, -v33
	v_mul_f64 v[12:13], v[24:25], s[0:1]
	v_cvt_f32_f64_e32 v24, v[0:1]
	v_add_nc_u32_e32 v0, 0x400, v255
	v_cvt_f64_f32_e32 v[6:7], v29
	v_cvt_f64_f32_e32 v[4:5], v28
	ds_read2_b64 v[0:3], v0 offset0:124 offset1:187
	s_clause 0x3
	buffer_load_dword v28, off, s[20:23], 0 offset:168
	buffer_load_dword v29, off, s[20:23], 0 offset:172
	buffer_load_dword v32, off, s[20:23], 0 offset:8
	buffer_load_dword v33, off, s[20:23], 0 offset:12
	v_cvt_f32_f64_e32 v25, v[12:13]
	v_add_co_u32 v12, vcc_lo, v20, s3
	v_add_co_ci_u32_e32 v13, vcc_lo, s2, v21, vcc_lo
	v_mul_f64 v[22:23], v[4:5], s[0:1]
	v_add_co_u32 v10, vcc_lo, v12, s4
	v_mul_f64 v[20:21], v[6:7], s[0:1]
	v_add_co_ci_u32_e32 v11, vcc_lo, s5, v13, vcc_lo
	v_add_nc_u32_e32 v5, 0x1c00, v255
	global_store_dwordx2 v[12:13], v[24:25], off
	v_add_nc_u32_e32 v24, 0x800, v255
	v_cvt_f32_f64_e32 v13, v[22:23]
	v_cvt_f32_f64_e32 v12, v[20:21]
	s_waitcnt vmcnt(2)
	v_mul_f32_e32 v6, v29, v15
	s_waitcnt vmcnt(0) lgkmcnt(0)
	v_mul_f32_e32 v30, v33, v1
	v_mul_f32_e32 v7, v29, v14
	;; [unrolled: 1-line block ×3, first 2 shown]
	v_fmac_f32_e32 v6, v28, v14
	v_fmac_f32_e32 v30, v32, v0
	v_add_co_u32 v0, vcc_lo, v10, s3
	v_fma_f32 v4, v28, v15, -v7
	v_fma_f32 v32, v32, v1, -v31
	v_add_co_ci_u32_e32 v1, vcc_lo, s2, v11, vcc_lo
	v_cvt_f64_f32_e32 v[14:15], v6
	v_cvt_f64_f32_e32 v[28:29], v4
	ds_read2_b64 v[4:7], v5 offset0:112 offset1:175
	global_store_dwordx2 v[10:11], v[8:9], off
	global_store_dwordx2 v[0:1], v[18:19], off
	ds_read2_b64 v[8:11], v24 offset0:122 offset1:185
	s_clause 0x1
	buffer_load_dword v22, off, s[20:23], 0 offset:160
	buffer_load_dword v23, off, s[20:23], 0 offset:164
	v_cvt_f64_f32_e32 v[30:31], v30
	v_cvt_f64_f32_e32 v[32:33], v32
	v_add_co_u32 v18, vcc_lo, v0, s4
	v_add_co_ci_u32_e32 v19, vcc_lo, s5, v1, vcc_lo
	s_clause 0x1
	buffer_load_dword v35, off, s[20:23], 0 offset:152
	buffer_load_dword v36, off, s[20:23], 0 offset:156
	v_mul_f64 v[14:15], v[14:15], s[0:1]
	v_mul_f64 v[20:21], v[28:29], s[0:1]
	v_cvt_f32_f64_e32 v14, v[14:15]
	v_cvt_f32_f64_e32 v15, v[20:21]
	s_waitcnt vmcnt(2) lgkmcnt(1)
	v_mul_f32_e32 v0, v23, v5
	v_mul_f32_e32 v1, v23, v4
	v_fmac_f32_e32 v0, v22, v4
	v_fma_f32 v1, v22, v5, -v1
	v_mul_f64 v[4:5], v[30:31], s[0:1]
	v_mul_f64 v[22:23], v[32:33], s[0:1]
	s_clause 0x3
	buffer_load_dword v31, off, s[20:23], 0 offset:144
	buffer_load_dword v32, off, s[20:23], 0 offset:148
	;; [unrolled: 1-line block ×4, first 2 shown]
	s_waitcnt vmcnt(4)
	v_mul_f32_e32 v28, v36, v3
	v_cvt_f64_f32_e32 v[24:25], v0
	v_cvt_f64_f32_e32 v[26:27], v1
	v_mul_f32_e32 v0, v36, v2
	v_add_co_u32 v36, vcc_lo, v18, s3
	v_fmac_f32_e32 v28, v35, v2
	v_add_nc_u32_e32 v2, 0x2000, v255
	v_fma_f32 v29, v35, v3, -v0
	v_add_co_ci_u32_e32 v37, vcc_lo, s2, v19, vcc_lo
	v_cvt_f32_f64_e32 v4, v[4:5]
	v_cvt_f32_f64_e32 v5, v[22:23]
	v_mul_f64 v[20:21], v[26:27], s[0:1]
	s_waitcnt vmcnt(2)
	v_mul_f32_e32 v1, v32, v6
	v_mul_f32_e32 v30, v32, v7
	s_waitcnt vmcnt(0) lgkmcnt(0)
	v_mul_f32_e32 v34, v39, v9
	v_fma_f32 v32, v31, v7, -v1
	ds_read2_b64 v[0:3], v2 offset0:110 offset1:173
	s_clause 0x1
	buffer_load_dword v40, off, s[20:23], 0 offset:128
	buffer_load_dword v41, off, s[20:23], 0 offset:132
	v_fmac_f32_e32 v30, v31, v6
	v_cvt_f64_f32_e32 v[6:7], v28
	v_cvt_f64_f32_e32 v[28:29], v29
	v_fmac_f32_e32 v34, v38, v8
	v_mul_f32_e32 v8, v39, v8
	v_cvt_f64_f32_e32 v[32:33], v32
	v_cvt_f64_f32_e32 v[30:31], v30
	global_store_dwordx2 v[18:19], v[12:13], off
	global_store_dwordx2 v[36:37], v[16:17], off
	v_cvt_f64_f32_e32 v[34:35], v34
	v_fma_f32 v38, v38, v9, -v8
	v_mul_f64 v[8:9], v[24:25], s[0:1]
	v_add_co_u32 v24, vcc_lo, v36, s4
	v_add_co_ci_u32_e32 v25, vcc_lo, s5, v37, vcc_lo
	v_cvt_f64_f32_e32 v[22:23], v38
	v_mul_f64 v[6:7], v[6:7], s[0:1]
	v_mul_f64 v[26:27], v[28:29], s[0:1]
	;; [unrolled: 1-line block ×3, first 2 shown]
	v_cvt_f32_f64_e32 v8, v[8:9]
	v_cvt_f32_f64_e32 v9, v[20:21]
	v_mul_f64 v[12:13], v[22:23], s[0:1]
	v_cvt_f32_f64_e32 v16, v[6:7]
	v_cvt_f32_f64_e32 v17, v[26:27]
	;; [unrolled: 1-line block ×3, first 2 shown]
	s_waitcnt vmcnt(0) lgkmcnt(0)
	v_mul_f32_e32 v38, v41, v1
	v_mul_f32_e32 v39, v41, v0
	v_fmac_f32_e32 v38, v40, v0
	v_fma_f32 v39, v40, v1, -v39
	v_mul_f64 v[0:1], v[30:31], s[0:1]
	v_mul_f64 v[30:31], v[34:35], s[0:1]
	v_cvt_f64_f32_e32 v[32:33], v38
	v_add_co_u32 v38, vcc_lo, v24, s3
	v_cvt_f64_f32_e32 v[34:35], v39
	v_add_co_ci_u32_e32 v39, vcc_lo, s2, v25, vcc_lo
	global_store_dwordx2 v[24:25], v[14:15], off
	global_store_dwordx2 v[38:39], v[4:5], off
	s_clause 0x3
	buffer_load_dword v21, off, s[20:23], 0 offset:120
	buffer_load_dword v22, off, s[20:23], 0 offset:124
	;; [unrolled: 1-line block ×4, first 2 shown]
	v_add_co_u32 v14, vcc_lo, v38, s4
	v_add_co_ci_u32_e32 v15, vcc_lo, s5, v39, vcc_lo
	v_cvt_f32_f64_e32 v18, v[0:1]
	v_cvt_f32_f64_e32 v20, v[30:31]
	v_mul_f64 v[4:5], v[32:33], s[0:1]
	v_add_nc_u32_e32 v32, 0x2400, v255
	v_mul_f64 v[6:7], v[34:35], s[0:1]
	v_cvt_f32_f64_e32 v30, v[4:5]
	v_cvt_f32_f64_e32 v31, v[6:7]
	ds_read2_b64 v[4:7], v32 offset0:108 offset1:171
	s_waitcnt vmcnt(2)
	v_mul_f32_e32 v0, v22, v11
	v_mul_f32_e32 v1, v22, v10
	s_waitcnt vmcnt(0)
	v_mul_f32_e32 v22, v26, v2
	v_mul_f32_e32 v24, v26, v3
	v_fmac_f32_e32 v0, v21, v10
	v_fma_f32 v1, v21, v11, -v1
	v_cvt_f32_f64_e32 v21, v[12:13]
	v_fma_f32 v26, v25, v3, -v22
	v_add_co_u32 v22, vcc_lo, v14, s3
	v_add_co_ci_u32_e32 v23, vcc_lo, s2, v15, vcc_lo
	v_cvt_f64_f32_e32 v[10:11], v0
	v_add_co_u32 v28, vcc_lo, v22, s4
	v_add_co_ci_u32_e32 v29, vcc_lo, s5, v23, vcc_lo
	v_add_nc_u32_e32 v0, 0xc00, v255
	v_add_co_u32 v32, vcc_lo, v28, s3
	v_add_co_ci_u32_e32 v33, vcc_lo, s2, v29, vcc_lo
	v_cvt_f64_f32_e32 v[12:13], v1
	v_fmac_f32_e32 v24, v25, v2
	ds_read2_b64 v[0:3], v0 offset0:120 offset1:183
	global_store_dwordx2 v[14:15], v[8:9], off
	global_store_dwordx2 v[22:23], v[16:17], off
	global_store_dwordx2 v[28:29], v[18:19], off
	global_store_dwordx2 v[32:33], v[20:21], off
	s_clause 0x1
	buffer_load_dword v22, off, s[20:23], 0 offset:72
	buffer_load_dword v23, off, s[20:23], 0 offset:76
	v_cvt_f64_f32_e32 v[26:27], v26
	v_cvt_f64_f32_e32 v[24:25], v24
	v_add_co_u32 v8, vcc_lo, v32, s4
	v_add_co_ci_u32_e32 v9, vcc_lo, s5, v33, vcc_lo
	v_mul_f64 v[10:11], v[10:11], s[0:1]
	v_mul_f64 v[12:13], v[12:13], s[0:1]
	;; [unrolled: 1-line block ×4, first 2 shown]
	v_cvt_f32_f64_e32 v27, v[16:17]
	v_cvt_f32_f64_e32 v26, v[14:15]
	s_waitcnt vmcnt(0) lgkmcnt(0)
	v_mul_f32_e32 v18, v23, v1
	v_fmac_f32_e32 v18, v22, v0
	v_mul_f32_e32 v0, v23, v0
	s_clause 0x1
	buffer_load_dword v23, off, s[20:23], 0 offset:64
	buffer_load_dword v24, off, s[20:23], 0 offset:68
	global_store_dwordx2 v[8:9], v[30:31], off
	v_cvt_f64_f32_e32 v[18:19], v18
	v_fma_f32 v22, v22, v1, -v0
	v_cvt_f32_f64_e32 v0, v[10:11]
	v_cvt_f32_f64_e32 v1, v[12:13]
	v_add_nc_u32_e32 v10, 0x1000, v255
	v_add_nc_u32_e32 v12, 0x2800, v255
	ds_read2_b64 v[12:15], v12 offset0:106 offset1:169
	v_mul_f64 v[18:19], v[18:19], s[0:1]
	s_waitcnt vmcnt(0)
	v_mul_f32_e32 v20, v24, v5
	v_mul_f32_e32 v21, v24, v4
	v_add_co_u32 v24, vcc_lo, v8, s3
	v_add_co_ci_u32_e32 v25, vcc_lo, s2, v9, vcc_lo
	ds_read2_b64 v[8:11], v10 offset0:118 offset1:181
	s_clause 0x3
	buffer_load_dword v30, off, s[20:23], 0 offset:48
	buffer_load_dword v31, off, s[20:23], 0 offset:52
	;; [unrolled: 1-line block ×4, first 2 shown]
	v_fmac_f32_e32 v20, v23, v4
	v_fma_f32 v23, v23, v5, -v21
	v_cvt_f64_f32_e32 v[4:5], v22
	v_add_co_u32 v16, vcc_lo, v24, s4
	v_cvt_f64_f32_e32 v[20:21], v20
	v_cvt_f64_f32_e32 v[22:23], v23
	v_add_co_ci_u32_e32 v17, vcc_lo, s5, v25, vcc_lo
	s_waitcnt vmcnt(2)
	v_mul_f32_e32 v28, v31, v3
	v_mul_f32_e32 v29, v31, v2
	s_waitcnt vmcnt(0)
	v_mul_f32_e32 v31, v36, v6
	v_fmac_f32_e32 v28, v30, v2
	v_fma_f32 v29, v30, v3, -v29
	v_mul_f32_e32 v30, v36, v7
	s_clause 0x3
	buffer_load_dword v36, off, s[20:23], 0 offset:112
	buffer_load_dword v37, off, s[20:23], 0 offset:116
	;; [unrolled: 1-line block ×4, first 2 shown]
	v_mul_f64 v[2:3], v[4:5], s[0:1]
	v_mul_f64 v[4:5], v[20:21], s[0:1]
	;; [unrolled: 1-line block ×3, first 2 shown]
	v_cvt_f64_f32_e32 v[22:23], v28
	v_cvt_f64_f32_e32 v[28:29], v29
	v_fmac_f32_e32 v30, v35, v6
	v_fma_f32 v31, v35, v7, -v31
	v_cvt_f64_f32_e32 v[6:7], v30
	v_cvt_f32_f64_e32 v4, v[4:5]
	v_cvt_f32_f64_e32 v5, v[20:21]
	v_mul_f64 v[6:7], v[6:7], s[0:1]
	v_cvt_f32_f64_e32 v6, v[6:7]
	s_waitcnt vmcnt(2) lgkmcnt(0)
	v_mul_f32_e32 v32, v37, v9
	s_waitcnt vmcnt(0)
	v_mul_f32_e32 v34, v41, v13
	v_mul_f32_e32 v33, v37, v8
	v_fmac_f32_e32 v32, v36, v8
	v_fmac_f32_e32 v34, v40, v12
	v_mul_f32_e32 v12, v41, v12
	s_clause 0x1
	buffer_load_dword v41, off, s[20:23], 0 offset:88
	buffer_load_dword v42, off, s[20:23], 0 offset:92
	v_fma_f32 v33, v36, v9, -v33
	v_cvt_f64_f32_e32 v[8:9], v31
	v_cvt_f64_f32_e32 v[30:31], v32
	v_fma_f32 v12, v40, v13, -v12
	v_cvt_f64_f32_e32 v[34:35], v34
	v_cvt_f64_f32_e32 v[32:33], v33
	v_mul_f64 v[8:9], v[8:9], s[0:1]
	v_mul_f64 v[20:21], v[30:31], s[0:1]
	v_cvt_f32_f64_e32 v7, v[8:9]
	v_cvt_f32_f64_e32 v20, v[20:21]
	s_waitcnt vmcnt(0)
	v_mul_f32_e32 v36, v42, v11
	v_mul_f32_e32 v37, v42, v10
	s_clause 0x1
	buffer_load_dword v42, off, s[20:23], 0 offset:96
	buffer_load_dword v43, off, s[20:23], 0 offset:100
	global_store_dwordx2 v[24:25], v[0:1], off
	global_store_dwordx2 v[16:17], v[26:27], off
	v_cvt_f32_f64_e32 v0, v[18:19]
	v_fmac_f32_e32 v36, v41, v10
	v_fma_f32 v37, v41, v11, -v37
	v_cvt_f64_f32_e32 v[10:11], v12
	v_cvt_f32_f64_e32 v1, v[2:3]
	v_mul_f64 v[2:3], v[22:23], s[0:1]
	v_cvt_f64_f32_e32 v[12:13], v36
	v_mul_f64 v[18:19], v[28:29], s[0:1]
	v_mul_f64 v[22:23], v[32:33], s[0:1]
	;; [unrolled: 1-line block ×3, first 2 shown]
	v_add_co_u32 v16, vcc_lo, v16, s3
	v_add_co_ci_u32_e32 v17, vcc_lo, s2, v17, vcc_lo
	v_add_co_u32 v30, vcc_lo, v16, s4
	v_add_co_ci_u32_e32 v31, vcc_lo, s5, v17, vcc_lo
	v_mul_f64 v[10:11], v[10:11], s[0:1]
	global_store_dwordx2 v[16:17], v[0:1], off
	v_cvt_f32_f64_e32 v2, v[2:3]
	v_mul_f64 v[12:13], v[12:13], s[0:1]
	v_cvt_f32_f64_e32 v3, v[18:19]
	v_add_co_u32 v18, vcc_lo, v30, s3
	v_add_co_ci_u32_e32 v19, vcc_lo, s2, v31, vcc_lo
	v_cvt_f32_f64_e32 v21, v[22:23]
	v_add_co_u32 v8, vcc_lo, v18, s4
	v_add_co_ci_u32_e32 v9, vcc_lo, s5, v19, vcc_lo
	v_cvt_f32_f64_e32 v22, v[24:25]
	global_store_dwordx2 v[30:31], v[4:5], off
	v_cvt_f32_f64_e32 v23, v[10:11]
	v_cvt_f32_f64_e32 v10, v[12:13]
	global_store_dwordx2 v[18:19], v[2:3], off
	s_waitcnt vmcnt(0)
	v_mul_f32_e32 v38, v43, v15
	v_mul_f32_e32 v39, v43, v14
	v_fmac_f32_e32 v38, v42, v14
	v_fma_f32 v39, v42, v15, -v39
	v_cvt_f64_f32_e32 v[14:15], v37
	v_cvt_f64_f32_e32 v[36:37], v38
	;; [unrolled: 1-line block ×3, first 2 shown]
	v_mul_f64 v[14:15], v[14:15], s[0:1]
	v_mul_f64 v[26:27], v[36:37], s[0:1]
	;; [unrolled: 1-line block ×3, first 2 shown]
	v_cvt_f32_f64_e32 v11, v[14:15]
	v_add_co_u32 v14, vcc_lo, v8, s3
	v_cvt_f32_f64_e32 v12, v[26:27]
	v_cvt_f32_f64_e32 v13, v[28:29]
	v_add_co_ci_u32_e32 v15, vcc_lo, s2, v9, vcc_lo
	v_add_co_u32 v0, vcc_lo, v14, s4
	v_add_co_ci_u32_e32 v1, vcc_lo, s5, v15, vcc_lo
	v_add_co_u32 v4, vcc_lo, v0, s3
	;; [unrolled: 2-line block ×3, first 2 shown]
	v_add_co_ci_u32_e32 v3, vcc_lo, s5, v5, vcc_lo
	global_store_dwordx2 v[8:9], v[6:7], off
	global_store_dwordx2 v[14:15], v[20:21], off
	global_store_dwordx2 v[0:1], v[22:23], off
	global_store_dwordx2 v[4:5], v[10:11], off
	global_store_dwordx2 v[2:3], v[12:13], off
.LBB0_10:
	s_endpgm
	.section	.rodata,"a",@progbits
	.p2align	6, 0x0
	.amdhsa_kernel bluestein_single_fwd_len1512_dim1_sp_op_CI_CI
		.amdhsa_group_segment_fixed_size 12096
		.amdhsa_private_segment_fixed_size 492
		.amdhsa_kernarg_size 104
		.amdhsa_user_sgpr_count 6
		.amdhsa_user_sgpr_private_segment_buffer 1
		.amdhsa_user_sgpr_dispatch_ptr 0
		.amdhsa_user_sgpr_queue_ptr 0
		.amdhsa_user_sgpr_kernarg_segment_ptr 1
		.amdhsa_user_sgpr_dispatch_id 0
		.amdhsa_user_sgpr_flat_scratch_init 0
		.amdhsa_user_sgpr_private_segment_size 0
		.amdhsa_wavefront_size32 1
		.amdhsa_uses_dynamic_stack 0
		.amdhsa_system_sgpr_private_segment_wavefront_offset 1
		.amdhsa_system_sgpr_workgroup_id_x 1
		.amdhsa_system_sgpr_workgroup_id_y 0
		.amdhsa_system_sgpr_workgroup_id_z 0
		.amdhsa_system_sgpr_workgroup_info 0
		.amdhsa_system_vgpr_workitem_id 0
		.amdhsa_next_free_vgpr 256
		.amdhsa_next_free_sgpr 24
		.amdhsa_reserve_vcc 1
		.amdhsa_reserve_flat_scratch 0
		.amdhsa_float_round_mode_32 0
		.amdhsa_float_round_mode_16_64 0
		.amdhsa_float_denorm_mode_32 3
		.amdhsa_float_denorm_mode_16_64 3
		.amdhsa_dx10_clamp 1
		.amdhsa_ieee_mode 1
		.amdhsa_fp16_overflow 0
		.amdhsa_workgroup_processor_mode 1
		.amdhsa_memory_ordered 1
		.amdhsa_forward_progress 0
		.amdhsa_shared_vgpr_count 0
		.amdhsa_exception_fp_ieee_invalid_op 0
		.amdhsa_exception_fp_denorm_src 0
		.amdhsa_exception_fp_ieee_div_zero 0
		.amdhsa_exception_fp_ieee_overflow 0
		.amdhsa_exception_fp_ieee_underflow 0
		.amdhsa_exception_fp_ieee_inexact 0
		.amdhsa_exception_int_div_zero 0
	.end_amdhsa_kernel
	.text
.Lfunc_end0:
	.size	bluestein_single_fwd_len1512_dim1_sp_op_CI_CI, .Lfunc_end0-bluestein_single_fwd_len1512_dim1_sp_op_CI_CI
                                        ; -- End function
	.section	.AMDGPU.csdata,"",@progbits
; Kernel info:
; codeLenInByte = 27572
; NumSgprs: 26
; NumVgprs: 256
; ScratchSize: 492
; MemoryBound: 0
; FloatMode: 240
; IeeeMode: 1
; LDSByteSize: 12096 bytes/workgroup (compile time only)
; SGPRBlocks: 3
; VGPRBlocks: 31
; NumSGPRsForWavesPerEU: 26
; NumVGPRsForWavesPerEU: 256
; Occupancy: 4
; WaveLimiterHint : 1
; COMPUTE_PGM_RSRC2:SCRATCH_EN: 1
; COMPUTE_PGM_RSRC2:USER_SGPR: 6
; COMPUTE_PGM_RSRC2:TRAP_HANDLER: 0
; COMPUTE_PGM_RSRC2:TGID_X_EN: 1
; COMPUTE_PGM_RSRC2:TGID_Y_EN: 0
; COMPUTE_PGM_RSRC2:TGID_Z_EN: 0
; COMPUTE_PGM_RSRC2:TIDIG_COMP_CNT: 0
	.text
	.p2alignl 6, 3214868480
	.fill 48, 4, 3214868480
	.type	__hip_cuid_b631b91a3f3fbba5,@object ; @__hip_cuid_b631b91a3f3fbba5
	.section	.bss,"aw",@nobits
	.globl	__hip_cuid_b631b91a3f3fbba5
__hip_cuid_b631b91a3f3fbba5:
	.byte	0                               ; 0x0
	.size	__hip_cuid_b631b91a3f3fbba5, 1

	.ident	"AMD clang version 19.0.0git (https://github.com/RadeonOpenCompute/llvm-project roc-6.4.0 25133 c7fe45cf4b819c5991fe208aaa96edf142730f1d)"
	.section	".note.GNU-stack","",@progbits
	.addrsig
	.addrsig_sym __hip_cuid_b631b91a3f3fbba5
	.amdgpu_metadata
---
amdhsa.kernels:
  - .args:
      - .actual_access:  read_only
        .address_space:  global
        .offset:         0
        .size:           8
        .value_kind:     global_buffer
      - .actual_access:  read_only
        .address_space:  global
        .offset:         8
        .size:           8
        .value_kind:     global_buffer
      - .actual_access:  read_only
        .address_space:  global
        .offset:         16
        .size:           8
        .value_kind:     global_buffer
      - .actual_access:  read_only
        .address_space:  global
        .offset:         24
        .size:           8
        .value_kind:     global_buffer
      - .actual_access:  read_only
        .address_space:  global
        .offset:         32
        .size:           8
        .value_kind:     global_buffer
      - .offset:         40
        .size:           8
        .value_kind:     by_value
      - .address_space:  global
        .offset:         48
        .size:           8
        .value_kind:     global_buffer
      - .address_space:  global
        .offset:         56
        .size:           8
        .value_kind:     global_buffer
      - .address_space:  global
        .offset:         64
        .size:           8
        .value_kind:     global_buffer
      - .address_space:  global
        .offset:         72
        .size:           8
        .value_kind:     global_buffer
      - .offset:         80
        .size:           4
        .value_kind:     by_value
      - .address_space:  global
        .offset:         88
        .size:           8
        .value_kind:     global_buffer
      - .address_space:  global
        .offset:         96
        .size:           8
        .value_kind:     global_buffer
    .group_segment_fixed_size: 12096
    .kernarg_segment_align: 8
    .kernarg_segment_size: 104
    .language:       OpenCL C
    .language_version:
      - 2
      - 0
    .max_flat_workgroup_size: 63
    .name:           bluestein_single_fwd_len1512_dim1_sp_op_CI_CI
    .private_segment_fixed_size: 492
    .sgpr_count:     26
    .sgpr_spill_count: 0
    .symbol:         bluestein_single_fwd_len1512_dim1_sp_op_CI_CI.kd
    .uniform_work_group_size: 1
    .uses_dynamic_stack: false
    .vgpr_count:     256
    .vgpr_spill_count: 122
    .wavefront_size: 32
    .workgroup_processor_mode: 1
amdhsa.target:   amdgcn-amd-amdhsa--gfx1030
amdhsa.version:
  - 1
  - 2
...

	.end_amdgpu_metadata
